;; amdgpu-corpus repo=zjin-lcf/HeCBench kind=compiled arch=gfx1100 opt=O3
	.text
	.amdgcn_target "amdgcn-amd-amdhsa--gfx1100"
	.amdhsa_code_object_version 6
	.section	.text._Z30fast_hadamard_transform_kernelI37fast_hadamard_transform_kernel_traitsILi1ELi3EfEEv18HadamardParamsBase,"axG",@progbits,_Z30fast_hadamard_transform_kernelI37fast_hadamard_transform_kernel_traitsILi1ELi3EfEEv18HadamardParamsBase,comdat
	.protected	_Z30fast_hadamard_transform_kernelI37fast_hadamard_transform_kernel_traitsILi1ELi3EfEEv18HadamardParamsBase ; -- Begin function _Z30fast_hadamard_transform_kernelI37fast_hadamard_transform_kernel_traitsILi1ELi3EfEEv18HadamardParamsBase
	.globl	_Z30fast_hadamard_transform_kernelI37fast_hadamard_transform_kernel_traitsILi1ELi3EfEEv18HadamardParamsBase
	.p2align	8
	.type	_Z30fast_hadamard_transform_kernelI37fast_hadamard_transform_kernel_traitsILi1ELi3EfEEv18HadamardParamsBase,@function
_Z30fast_hadamard_transform_kernelI37fast_hadamard_transform_kernel_traitsILi1ELi3EfEEv18HadamardParamsBase: ; @_Z30fast_hadamard_transform_kernelI37fast_hadamard_transform_kernel_traitsILi1ELi3EfEEv18HadamardParamsBase
; %bb.0:
	s_clause 0x3
	s_load_b128 s[8:11], s[0:1], 0x10
	s_load_b128 s[4:7], s[0:1], 0x28
	s_load_b32 s13, s[0:1], 0x4
	s_load_b32 s14, s[0:1], 0x44
	s_ashr_i32 s12, s15, 31
	s_mov_b32 s16, 0
	s_mov_b32 s20, 0
	;; [unrolled: 1-line block ×5, first 2 shown]
	s_waitcnt lgkmcnt(0)
	s_mul_hi_u32 s2, s8, s15
	s_mul_i32 s3, s8, s12
	s_mul_i32 s9, s9, s15
	s_add_i32 s3, s2, s3
	s_mul_i32 s2, s8, s15
	s_add_i32 s3, s3, s9
	s_delay_alu instid0(SALU_CYCLE_1) | instskip(NEXT) | instid1(SALU_CYCLE_1)
	s_lshl_b64 s[2:3], s[2:3], 2
	s_add_u32 s2, s4, s2
	s_addc_u32 s3, s5, s3
	s_cmp_lg_u32 s13, 0
	s_cselect_b32 s5, -1, 0
	s_cmp_eq_u32 s13, 0
	s_cbranch_scc1 .LBB0_2
; %bb.1:
	s_load_b128 s[20:23], s[2:3], 0x0
.LBB0_2:
	s_and_b32 s4, 0xffff, s14
	s_mov_b32 s17, 0
	s_lshl_b32 s9, s4, 2
	s_mov_b32 s18, 0
	s_cmp_lt_u32 s9, s13
	s_mov_b32 s19, 0
	s_cselect_b32 s8, -1, 0
	s_cmp_ge_u32 s9, s13
	s_cbranch_scc1 .LBB0_4
; %bb.3:
	s_lshl_b32 s9, s4, 4
	s_load_b128 s[16:19], s[2:3], s9 offset:0x0
.LBB0_4:
	s_load_b32 s2, s[0:1], 0x20
	s_mul_i32 s0, s10, s12
	s_mul_hi_u32 s1, s10, s15
	s_waitcnt lgkmcnt(0)
	v_add_f32_e64 v0, s20, s21
	v_sub_f32_e64 v5, s20, s21
	v_add_f32_e64 v2, s16, s17
	v_add_f32_e64 v3, s22, s23
	v_sub_f32_e64 v7, s16, s17
	v_add_f32_e64 v4, s18, s19
	v_sub_f32_e64 v6, s22, s23
	v_sub_f32_e64 v8, s18, s19
	s_add_i32 s0, s1, s0
	s_mul_i32 s1, s11, s15
	v_add_f32_e32 v1, v0, v3
	s_add_i32 s1, s0, s1
	s_mul_i32 s0, s10, s15
	v_dual_sub_f32 v0, v0, v3 :: v_dual_add_f32 v3, v2, v4
	v_sub_f32_e32 v2, v2, v4
	v_add_f32_e32 v4, v5, v6
	v_dual_sub_f32 v5, v5, v6 :: v_dual_add_f32 v6, v7, v8
	s_lshl_b64 s[0:1], s[0:1], 2
	v_sub_f32_e32 v7, v7, v8
	s_add_u32 s0, s6, s0
	s_addc_u32 s1, s7, s1
	s_and_not1_b32 vcc_lo, exec_lo, s5
	s_cbranch_vccz .LBB0_7
; %bb.5:
	s_and_not1_b32 vcc_lo, exec_lo, s8
	s_cbranch_vccz .LBB0_8
.LBB0_6:
	s_nop 0
	s_sendmsg sendmsg(MSG_DEALLOC_VGPRS)
	s_endpgm
.LBB0_7:
	v_dual_add_f32 v8, v5, v7 :: v_dual_add_f32 v9, v0, v2
	v_dual_add_f32 v12, v4, v6 :: v_dual_add_f32 v13, v1, v3
	s_delay_alu instid0(VALU_DEP_2) | instskip(NEXT) | instid1(VALU_DEP_2)
	v_dual_mul_f32 v11, s2, v8 :: v_dual_mul_f32 v10, s2, v9
	v_dual_mul_f32 v9, s2, v12 :: v_dual_mul_f32 v8, s2, v13
	v_mov_b32_e32 v12, 0
	global_store_b128 v12, v[8:11], s[0:1]
	s_and_not1_b32 vcc_lo, exec_lo, s8
	s_cbranch_vccnz .LBB0_6
.LBB0_8:
	v_dual_sub_f32 v1, v1, v3 :: v_dual_sub_f32 v2, v0, v2
	v_dual_sub_f32 v3, v4, v6 :: v_dual_sub_f32 v4, v5, v7
	s_lshl_b32 s3, s4, 4
	s_delay_alu instid0(VALU_DEP_2) | instskip(NEXT) | instid1(VALU_DEP_2)
	v_mul_f32_e32 v0, s2, v1
	v_dual_mul_f32 v2, s2, v2 :: v_dual_mul_f32 v1, s2, v3
	s_delay_alu instid0(VALU_DEP_3)
	v_dual_mul_f32 v3, s2, v4 :: v_dual_mov_b32 v4, s3
	global_store_b128 v4, v[0:3], s[0:1]
	s_nop 0
	s_sendmsg sendmsg(MSG_DEALLOC_VGPRS)
	s_endpgm
	.section	.rodata,"a",@progbits
	.p2align	6, 0x0
	.amdhsa_kernel _Z30fast_hadamard_transform_kernelI37fast_hadamard_transform_kernel_traitsILi1ELi3EfEEv18HadamardParamsBase
		.amdhsa_group_segment_fixed_size 0
		.amdhsa_private_segment_fixed_size 0
		.amdhsa_kernarg_size 312
		.amdhsa_user_sgpr_count 15
		.amdhsa_user_sgpr_dispatch_ptr 0
		.amdhsa_user_sgpr_queue_ptr 0
		.amdhsa_user_sgpr_kernarg_segment_ptr 1
		.amdhsa_user_sgpr_dispatch_id 0
		.amdhsa_user_sgpr_private_segment_size 0
		.amdhsa_wavefront_size32 1
		.amdhsa_uses_dynamic_stack 0
		.amdhsa_enable_private_segment 0
		.amdhsa_system_sgpr_workgroup_id_x 1
		.amdhsa_system_sgpr_workgroup_id_y 0
		.amdhsa_system_sgpr_workgroup_id_z 0
		.amdhsa_system_sgpr_workgroup_info 0
		.amdhsa_system_vgpr_workitem_id 0
		.amdhsa_next_free_vgpr 14
		.amdhsa_next_free_sgpr 24
		.amdhsa_reserve_vcc 1
		.amdhsa_float_round_mode_32 0
		.amdhsa_float_round_mode_16_64 0
		.amdhsa_float_denorm_mode_32 3
		.amdhsa_float_denorm_mode_16_64 3
		.amdhsa_dx10_clamp 1
		.amdhsa_ieee_mode 1
		.amdhsa_fp16_overflow 0
		.amdhsa_workgroup_processor_mode 1
		.amdhsa_memory_ordered 1
		.amdhsa_forward_progress 0
		.amdhsa_shared_vgpr_count 0
		.amdhsa_exception_fp_ieee_invalid_op 0
		.amdhsa_exception_fp_denorm_src 0
		.amdhsa_exception_fp_ieee_div_zero 0
		.amdhsa_exception_fp_ieee_overflow 0
		.amdhsa_exception_fp_ieee_underflow 0
		.amdhsa_exception_fp_ieee_inexact 0
		.amdhsa_exception_int_div_zero 0
	.end_amdhsa_kernel
	.section	.text._Z30fast_hadamard_transform_kernelI37fast_hadamard_transform_kernel_traitsILi1ELi3EfEEv18HadamardParamsBase,"axG",@progbits,_Z30fast_hadamard_transform_kernelI37fast_hadamard_transform_kernel_traitsILi1ELi3EfEEv18HadamardParamsBase,comdat
.Lfunc_end0:
	.size	_Z30fast_hadamard_transform_kernelI37fast_hadamard_transform_kernel_traitsILi1ELi3EfEEv18HadamardParamsBase, .Lfunc_end0-_Z30fast_hadamard_transform_kernelI37fast_hadamard_transform_kernel_traitsILi1ELi3EfEEv18HadamardParamsBase
                                        ; -- End function
	.section	.AMDGPU.csdata,"",@progbits
; Kernel info:
; codeLenInByte = 476
; NumSgprs: 26
; NumVgprs: 14
; ScratchSize: 0
; MemoryBound: 0
; FloatMode: 240
; IeeeMode: 1
; LDSByteSize: 0 bytes/workgroup (compile time only)
; SGPRBlocks: 3
; VGPRBlocks: 1
; NumSGPRsForWavesPerEU: 26
; NumVGPRsForWavesPerEU: 14
; Occupancy: 16
; WaveLimiterHint : 0
; COMPUTE_PGM_RSRC2:SCRATCH_EN: 0
; COMPUTE_PGM_RSRC2:USER_SGPR: 15
; COMPUTE_PGM_RSRC2:TRAP_HANDLER: 0
; COMPUTE_PGM_RSRC2:TGID_X_EN: 1
; COMPUTE_PGM_RSRC2:TGID_Y_EN: 0
; COMPUTE_PGM_RSRC2:TGID_Z_EN: 0
; COMPUTE_PGM_RSRC2:TIDIG_COMP_CNT: 0
	.section	.text._Z30fast_hadamard_transform_kernelI37fast_hadamard_transform_kernel_traitsILi2ELi4EfEEv18HadamardParamsBase,"axG",@progbits,_Z30fast_hadamard_transform_kernelI37fast_hadamard_transform_kernel_traitsILi2ELi4EfEEv18HadamardParamsBase,comdat
	.protected	_Z30fast_hadamard_transform_kernelI37fast_hadamard_transform_kernel_traitsILi2ELi4EfEEv18HadamardParamsBase ; -- Begin function _Z30fast_hadamard_transform_kernelI37fast_hadamard_transform_kernel_traitsILi2ELi4EfEEv18HadamardParamsBase
	.globl	_Z30fast_hadamard_transform_kernelI37fast_hadamard_transform_kernel_traitsILi2ELi4EfEEv18HadamardParamsBase
	.p2align	8
	.type	_Z30fast_hadamard_transform_kernelI37fast_hadamard_transform_kernel_traitsILi2ELi4EfEEv18HadamardParamsBase,@function
_Z30fast_hadamard_transform_kernelI37fast_hadamard_transform_kernel_traitsILi2ELi4EfEEv18HadamardParamsBase: ; @_Z30fast_hadamard_transform_kernelI37fast_hadamard_transform_kernel_traitsILi2ELi4EfEEv18HadamardParamsBase
; %bb.0:
	s_clause 0x3
	s_load_b128 s[8:11], s[0:1], 0x10
	s_load_b32 s2, s[0:1], 0x4
	s_load_b128 s[4:7], s[0:1], 0x28
	s_load_b32 s3, s[0:1], 0x44
	s_ashr_i32 s12, s15, 31
	v_dual_mov_b32 v5, 0 :: v_dual_lshlrev_b32 v2, 2, v0
	v_dual_mov_b32 v1, 0 :: v_dual_mov_b32 v6, 0
	v_dual_mov_b32 v7, 0 :: v_dual_mov_b32 v8, 0
	v_lshlrev_b32_e32 v9, 4, v0
	s_waitcnt lgkmcnt(0)
	s_mul_hi_u32 s13, s8, s15
	s_mul_i32 s14, s8, s12
	s_mul_i32 s9, s9, s15
	s_add_i32 s13, s13, s14
	s_mul_i32 s8, s8, s15
	s_add_i32 s9, s13, s9
	v_cmp_gt_u32_e32 vcc_lo, s2, v2
	s_lshl_b64 s[8:9], s[8:9], 2
	s_delay_alu instid0(SALU_CYCLE_1)
	s_add_u32 s4, s4, s8
	s_addc_u32 s5, s5, s9
	s_and_saveexec_b32 s8, vcc_lo
	s_cbranch_execz .LBB1_2
; %bb.1:
	global_load_b128 v[5:8], v9, s[4:5]
.LBB1_2:
	s_or_b32 exec_lo, exec_lo, s8
	s_and_b32 s3, 0xffff, s3
	s_delay_alu instid0(SALU_CYCLE_1) | instskip(NEXT) | instid1(VALU_DEP_1)
	v_dual_mov_b32 v3, 0 :: v_dual_add_nc_u32 v4, s3, v0
	v_dual_mov_b32 v2, 0 :: v_dual_lshlrev_b32 v11, 2, v4
	v_lshlrev_b32_e32 v10, 4, v4
	v_mov_b32_e32 v4, 0
	s_delay_alu instid0(VALU_DEP_3) | instskip(NEXT) | instid1(VALU_DEP_1)
	v_cmp_gt_u32_e64 s2, s2, v11
	s_and_saveexec_b32 s3, s2
	s_cbranch_execz .LBB1_4
; %bb.3:
	global_load_b128 v[1:4], v10, s[4:5]
.LBB1_4:
	s_or_b32 exec_lo, exec_lo, s3
	v_mbcnt_lo_u32_b32 v11, -1, 0
	s_waitcnt vmcnt(0)
	v_add_f32_e32 v12, v5, v6
	v_sub_f32_e32 v5, v5, v6
	v_add_f32_e32 v13, v1, v2
	v_sub_f32_e32 v1, v1, v2
	v_xor_b32_e32 v6, 1, v11
	v_add_f32_e32 v2, v7, v8
	v_sub_f32_e32 v7, v7, v8
	v_add_f32_e32 v8, v3, v4
	v_sub_f32_e32 v3, v3, v4
	v_cmp_gt_i32_e64 s3, 32, v6
	v_add_f32_e32 v4, v12, v2
	v_sub_f32_e32 v2, v12, v2
	s_load_b32 s4, s[0:1], 0x20
	s_mul_i32 s0, s10, s12
	v_cndmask_b32_e64 v6, v11, v6, s3
	v_add_f32_e32 v11, v5, v7
	v_cmp_eq_u32_e64 s3, 0, v0
	s_mul_hi_u32 s1, s10, s15
	s_delay_alu instid0(VALU_DEP_3) | instskip(SKIP_1) | instid1(VALU_DEP_2)
	v_dual_sub_f32 v5, v5, v7 :: v_dual_lshlrev_b32 v6, 2, v6
	s_add_i32 s0, s1, s0
	v_cndmask_b32_e64 v0, -v4, v4, s3
	s_mul_i32 s1, s11, s15
	s_delay_alu instid0(SALU_CYCLE_1)
	s_add_i32 s1, s0, s1
	ds_bpermute_b32 v16, v6, v2
	ds_bpermute_b32 v17, v6, v5
	v_cndmask_b32_e64 v2, -v2, v2, s3
	v_add_f32_e32 v12, v13, v8
	ds_bpermute_b32 v14, v6, v4
	v_sub_f32_e32 v8, v13, v8
	ds_bpermute_b32 v15, v6, v11
	s_mul_i32 s0, s10, s15
	s_delay_alu instid0(SALU_CYCLE_1) | instskip(NEXT) | instid1(SALU_CYCLE_1)
	s_lshl_b64 s[0:1], s[0:1], 2
	s_add_u32 s0, s6, s0
	s_addc_u32 s1, s7, s1
	s_waitcnt lgkmcnt(0)
	v_dual_add_f32 v2, v2, v16 :: v_dual_add_f32 v7, v1, v3
	v_sub_f32_e32 v13, v1, v3
	v_cndmask_b32_e64 v3, -v5, v5, s3
	v_cndmask_b32_e64 v1, -v11, v11, s3
	v_add_f32_e32 v0, v0, v14
	ds_bpermute_b32 v19, v6, v7
	v_cndmask_b32_e64 v5, -v7, v7, s3
	v_add_f32_e32 v3, v3, v17
	ds_bpermute_b32 v18, v6, v12
	v_cndmask_b32_e64 v4, -v12, v12, s3
	s_waitcnt lgkmcnt(0)
	s_delay_alu instid0(VALU_DEP_1) | instskip(SKIP_3) | instid1(VALU_DEP_1)
	v_dual_add_f32 v5, v5, v19 :: v_dual_add_f32 v4, v4, v18
	ds_bpermute_b32 v11, v6, v13
	v_cndmask_b32_e64 v7, -v13, v13, s3
	s_waitcnt lgkmcnt(0)
	v_add_f32_e32 v7, v7, v11
	ds_bpermute_b32 v20, v6, v8
	v_cndmask_b32_e64 v6, -v8, v8, s3
	s_waitcnt lgkmcnt(0)
	s_delay_alu instid0(VALU_DEP_1)
	v_dual_add_f32 v1, v1, v15 :: v_dual_add_f32 v6, v6, v20
	s_and_saveexec_b32 s3, vcc_lo
	s_cbranch_execnz .LBB1_7
; %bb.5:
	s_or_b32 exec_lo, exec_lo, s3
	s_and_saveexec_b32 s3, s2
	s_cbranch_execnz .LBB1_8
.LBB1_6:
	s_nop 0
	s_sendmsg sendmsg(MSG_DEALLOC_VGPRS)
	s_endpgm
.LBB1_7:
	s_delay_alu instid0(VALU_DEP_1) | instskip(NEXT) | instid1(VALU_DEP_2)
	v_dual_add_f32 v8, v3, v7 :: v_dual_add_f32 v11, v2, v6
	v_dual_add_f32 v12, v1, v5 :: v_dual_add_f32 v15, v0, v4
	s_delay_alu instid0(VALU_DEP_2) | instskip(NEXT) | instid1(VALU_DEP_2)
	v_dual_mul_f32 v14, s4, v8 :: v_dual_mul_f32 v13, s4, v11
	v_dual_mul_f32 v12, s4, v12 :: v_dual_mul_f32 v11, s4, v15
	global_store_b128 v9, v[11:14], s[0:1]
	s_or_b32 exec_lo, exec_lo, s3
	s_and_saveexec_b32 s3, s2
	s_cbranch_execz .LBB1_6
.LBB1_8:
	v_dual_sub_f32 v0, v0, v4 :: v_dual_sub_f32 v1, v1, v5
	v_dual_sub_f32 v2, v2, v6 :: v_dual_sub_f32 v3, v3, v7
	s_delay_alu instid0(VALU_DEP_2) | instskip(NEXT) | instid1(VALU_DEP_2)
	v_dual_mul_f32 v0, s4, v0 :: v_dual_mul_f32 v1, s4, v1
	v_dual_mul_f32 v2, s4, v2 :: v_dual_mul_f32 v3, s4, v3
	global_store_b128 v10, v[0:3], s[0:1]
	s_nop 0
	s_sendmsg sendmsg(MSG_DEALLOC_VGPRS)
	s_endpgm
	.section	.rodata,"a",@progbits
	.p2align	6, 0x0
	.amdhsa_kernel _Z30fast_hadamard_transform_kernelI37fast_hadamard_transform_kernel_traitsILi2ELi4EfEEv18HadamardParamsBase
		.amdhsa_group_segment_fixed_size 0
		.amdhsa_private_segment_fixed_size 0
		.amdhsa_kernarg_size 312
		.amdhsa_user_sgpr_count 15
		.amdhsa_user_sgpr_dispatch_ptr 0
		.amdhsa_user_sgpr_queue_ptr 0
		.amdhsa_user_sgpr_kernarg_segment_ptr 1
		.amdhsa_user_sgpr_dispatch_id 0
		.amdhsa_user_sgpr_private_segment_size 0
		.amdhsa_wavefront_size32 1
		.amdhsa_uses_dynamic_stack 0
		.amdhsa_enable_private_segment 0
		.amdhsa_system_sgpr_workgroup_id_x 1
		.amdhsa_system_sgpr_workgroup_id_y 0
		.amdhsa_system_sgpr_workgroup_id_z 0
		.amdhsa_system_sgpr_workgroup_info 0
		.amdhsa_system_vgpr_workitem_id 0
		.amdhsa_next_free_vgpr 21
		.amdhsa_next_free_sgpr 16
		.amdhsa_reserve_vcc 1
		.amdhsa_float_round_mode_32 0
		.amdhsa_float_round_mode_16_64 0
		.amdhsa_float_denorm_mode_32 3
		.amdhsa_float_denorm_mode_16_64 3
		.amdhsa_dx10_clamp 1
		.amdhsa_ieee_mode 1
		.amdhsa_fp16_overflow 0
		.amdhsa_workgroup_processor_mode 1
		.amdhsa_memory_ordered 1
		.amdhsa_forward_progress 0
		.amdhsa_shared_vgpr_count 0
		.amdhsa_exception_fp_ieee_invalid_op 0
		.amdhsa_exception_fp_denorm_src 0
		.amdhsa_exception_fp_ieee_div_zero 0
		.amdhsa_exception_fp_ieee_overflow 0
		.amdhsa_exception_fp_ieee_underflow 0
		.amdhsa_exception_fp_ieee_inexact 0
		.amdhsa_exception_int_div_zero 0
	.end_amdhsa_kernel
	.section	.text._Z30fast_hadamard_transform_kernelI37fast_hadamard_transform_kernel_traitsILi2ELi4EfEEv18HadamardParamsBase,"axG",@progbits,_Z30fast_hadamard_transform_kernelI37fast_hadamard_transform_kernel_traitsILi2ELi4EfEEv18HadamardParamsBase,comdat
.Lfunc_end1:
	.size	_Z30fast_hadamard_transform_kernelI37fast_hadamard_transform_kernel_traitsILi2ELi4EfEEv18HadamardParamsBase, .Lfunc_end1-_Z30fast_hadamard_transform_kernelI37fast_hadamard_transform_kernel_traitsILi2ELi4EfEEv18HadamardParamsBase
                                        ; -- End function
	.section	.AMDGPU.csdata,"",@progbits
; Kernel info:
; codeLenInByte = 700
; NumSgprs: 18
; NumVgprs: 21
; ScratchSize: 0
; MemoryBound: 0
; FloatMode: 240
; IeeeMode: 1
; LDSByteSize: 0 bytes/workgroup (compile time only)
; SGPRBlocks: 2
; VGPRBlocks: 2
; NumSGPRsForWavesPerEU: 18
; NumVGPRsForWavesPerEU: 21
; Occupancy: 16
; WaveLimiterHint : 0
; COMPUTE_PGM_RSRC2:SCRATCH_EN: 0
; COMPUTE_PGM_RSRC2:USER_SGPR: 15
; COMPUTE_PGM_RSRC2:TRAP_HANDLER: 0
; COMPUTE_PGM_RSRC2:TGID_X_EN: 1
; COMPUTE_PGM_RSRC2:TGID_Y_EN: 0
; COMPUTE_PGM_RSRC2:TGID_Z_EN: 0
; COMPUTE_PGM_RSRC2:TIDIG_COMP_CNT: 0
	.section	.text._Z30fast_hadamard_transform_kernelI37fast_hadamard_transform_kernel_traitsILi4ELi5EfEEv18HadamardParamsBase,"axG",@progbits,_Z30fast_hadamard_transform_kernelI37fast_hadamard_transform_kernel_traitsILi4ELi5EfEEv18HadamardParamsBase,comdat
	.protected	_Z30fast_hadamard_transform_kernelI37fast_hadamard_transform_kernel_traitsILi4ELi5EfEEv18HadamardParamsBase ; -- Begin function _Z30fast_hadamard_transform_kernelI37fast_hadamard_transform_kernel_traitsILi4ELi5EfEEv18HadamardParamsBase
	.globl	_Z30fast_hadamard_transform_kernelI37fast_hadamard_transform_kernel_traitsILi4ELi5EfEEv18HadamardParamsBase
	.p2align	8
	.type	_Z30fast_hadamard_transform_kernelI37fast_hadamard_transform_kernel_traitsILi4ELi5EfEEv18HadamardParamsBase,@function
_Z30fast_hadamard_transform_kernelI37fast_hadamard_transform_kernel_traitsILi4ELi5EfEEv18HadamardParamsBase: ; @_Z30fast_hadamard_transform_kernelI37fast_hadamard_transform_kernel_traitsILi4ELi5EfEEv18HadamardParamsBase
; %bb.0:
	s_clause 0x3
	s_load_b128 s[8:11], s[0:1], 0x10
	s_load_b32 s2, s[0:1], 0x4
	s_load_b128 s[4:7], s[0:1], 0x28
	s_load_b32 s3, s[0:1], 0x44
	s_ashr_i32 s12, s15, 31
	v_dual_mov_b32 v5, 0 :: v_dual_lshlrev_b32 v2, 2, v0
	v_dual_mov_b32 v1, 0 :: v_dual_mov_b32 v6, 0
	v_dual_mov_b32 v7, 0 :: v_dual_mov_b32 v8, 0
	v_lshlrev_b32_e32 v9, 4, v0
	s_waitcnt lgkmcnt(0)
	s_mul_hi_u32 s13, s8, s15
	s_mul_i32 s14, s8, s12
	s_mul_i32 s9, s9, s15
	s_add_i32 s13, s13, s14
	s_mul_i32 s8, s8, s15
	s_add_i32 s9, s13, s9
	v_cmp_gt_u32_e32 vcc_lo, s2, v2
	s_lshl_b64 s[8:9], s[8:9], 2
	s_delay_alu instid0(SALU_CYCLE_1)
	s_add_u32 s4, s4, s8
	s_addc_u32 s5, s5, s9
	s_and_saveexec_b32 s8, vcc_lo
	s_cbranch_execz .LBB2_2
; %bb.1:
	global_load_b128 v[5:8], v9, s[4:5]
.LBB2_2:
	s_or_b32 exec_lo, exec_lo, s8
	s_and_b32 s3, 0xffff, s3
	s_delay_alu instid0(SALU_CYCLE_1) | instskip(NEXT) | instid1(VALU_DEP_1)
	v_dual_mov_b32 v3, 0 :: v_dual_add_nc_u32 v4, s3, v0
	v_dual_mov_b32 v2, 0 :: v_dual_lshlrev_b32 v11, 2, v4
	v_lshlrev_b32_e32 v10, 4, v4
	v_mov_b32_e32 v4, 0
	s_delay_alu instid0(VALU_DEP_3) | instskip(NEXT) | instid1(VALU_DEP_1)
	v_cmp_gt_u32_e64 s2, s2, v11
	s_and_saveexec_b32 s3, s2
	s_cbranch_execz .LBB2_4
; %bb.3:
	global_load_b128 v[1:4], v10, s[4:5]
.LBB2_4:
	s_or_b32 exec_lo, exec_lo, s3
	v_mbcnt_lo_u32_b32 v11, -1, 0
	s_waitcnt vmcnt(0)
	v_add_f32_e32 v12, v5, v6
	v_sub_f32_e32 v5, v5, v6
	v_add_f32_e32 v13, v1, v2
	v_sub_f32_e32 v1, v1, v2
	v_xor_b32_e32 v6, 1, v11
	v_add_f32_e32 v2, v7, v8
	v_sub_f32_e32 v7, v7, v8
	v_add_f32_e32 v8, v3, v4
	v_sub_f32_e32 v3, v3, v4
	v_cmp_gt_i32_e64 s3, 32, v6
	v_add_f32_e32 v4, v12, v2
	v_sub_f32_e32 v2, v12, v2
	v_dual_add_f32 v12, v5, v7 :: v_dual_and_b32 v17, 1, v0
	s_delay_alu instid0(VALU_DEP_4) | instskip(SKIP_1) | instid1(VALU_DEP_3)
	v_cndmask_b32_e64 v6, v11, v6, s3
	v_sub_f32_e32 v5, v5, v7
	v_cmp_eq_u32_e64 s3, 0, v17
	s_delay_alu instid0(VALU_DEP_3) | instskip(SKIP_3) | instid1(VALU_DEP_1)
	v_lshlrev_b32_e32 v6, 2, v6
	ds_bpermute_b32 v15, v6, v4
	v_cndmask_b32_e64 v4, -v4, v4, s3
	s_waitcnt lgkmcnt(0)
	v_add_f32_e32 v4, v4, v15
	v_add_f32_e32 v7, v1, v3
	ds_bpermute_b32 v16, v6, v12
	v_cndmask_b32_e64 v12, -v12, v12, s3
	v_sub_f32_e32 v1, v1, v3
	v_xor_b32_e32 v3, 2, v11
	ds_bpermute_b32 v21, v6, v7
	ds_bpermute_b32 v18, v6, v2
	ds_bpermute_b32 v19, v6, v5
	v_cndmask_b32_e64 v7, -v7, v7, s3
	v_cmp_gt_i32_e64 s4, 32, v3
	v_cndmask_b32_e64 v2, -v2, v2, s3
	v_cndmask_b32_e64 v5, -v5, v5, s3
	s_delay_alu instid0(VALU_DEP_3)
	v_cndmask_b32_e64 v3, v11, v3, s4
	v_add_f32_e32 v14, v13, v8
	v_sub_f32_e32 v8, v13, v8
	s_load_b32 s4, s[0:1], 0x20
	s_mul_i32 s0, s10, s12
	v_lshlrev_b32_e32 v3, 2, v3
	ds_bpermute_b32 v20, v6, v14
	s_waitcnt lgkmcnt(0)
	v_add_f32_e32 v12, v12, v16
	v_cndmask_b32_e64 v13, -v14, v14, s3
	s_mul_hi_u32 s1, s10, s15
	ds_bpermute_b32 v14, v3, v4
	v_add_f32_e32 v7, v7, v21
	ds_bpermute_b32 v11, v6, v8
	ds_bpermute_b32 v6, v6, v1
	v_dual_add_f32 v2, v2, v18 :: v_dual_add_f32 v5, v5, v19
	v_cndmask_b32_e64 v8, -v8, v8, s3
	v_cndmask_b32_e64 v1, -v1, v1, s3
	ds_bpermute_b32 v15, v3, v12
	v_and_b32_e32 v0, 2, v0
	ds_bpermute_b32 v17, v3, v5
	ds_bpermute_b32 v16, v3, v2
	;; [unrolled: 1-line block ×3, first 2 shown]
	s_add_i32 s0, s1, s0
	v_cmp_eq_u32_e64 s3, 0, v0
	s_mul_i32 s1, s11, s15
	v_add_f32_e32 v13, v13, v20
	s_add_i32 s1, s0, s1
	s_mul_i32 s0, s10, s15
	v_cndmask_b32_e64 v0, -v4, v4, s3
	v_cndmask_b32_e64 v2, -v2, v2, s3
	s_lshl_b64 s[0:1], s[0:1], 2
	s_waitcnt lgkmcnt(5)
	v_add_f32_e32 v8, v8, v11
	s_waitcnt lgkmcnt(4)
	v_add_f32_e32 v6, v1, v6
	ds_bpermute_b32 v18, v3, v13
	v_cndmask_b32_e64 v1, -v12, v12, s3
	v_cndmask_b32_e64 v4, -v13, v13, s3
	ds_bpermute_b32 v11, v3, v8
	ds_bpermute_b32 v12, v3, v6
	v_cndmask_b32_e64 v3, -v5, v5, s3
	v_cndmask_b32_e64 v5, -v7, v7, s3
	;; [unrolled: 1-line block ×3, first 2 shown]
	s_waitcnt lgkmcnt(6)
	v_dual_add_f32 v0, v0, v14 :: v_dual_add_f32 v1, v1, v15
	s_waitcnt lgkmcnt(5)
	v_add_f32_e32 v3, v3, v17
	s_waitcnt lgkmcnt(3)
	v_add_f32_e32 v5, v5, v19
	v_cndmask_b32_e64 v8, -v6, v6, s3
	v_add_f32_e32 v2, v2, v16
	s_add_u32 s0, s6, s0
	s_addc_u32 s1, s7, s1
	s_waitcnt lgkmcnt(2)
	v_add_f32_e32 v4, v4, v18
	s_waitcnt lgkmcnt(0)
	v_dual_add_f32 v6, v7, v11 :: v_dual_add_f32 v7, v8, v12
	s_and_saveexec_b32 s3, vcc_lo
	s_cbranch_execnz .LBB2_7
; %bb.5:
	s_or_b32 exec_lo, exec_lo, s3
	s_and_saveexec_b32 s3, s2
	s_cbranch_execnz .LBB2_8
.LBB2_6:
	s_nop 0
	s_sendmsg sendmsg(MSG_DEALLOC_VGPRS)
	s_endpgm
.LBB2_7:
	s_delay_alu instid0(VALU_DEP_1) | instskip(SKIP_1) | instid1(VALU_DEP_2)
	v_dual_add_f32 v8, v3, v7 :: v_dual_add_f32 v11, v2, v6
	v_dual_add_f32 v12, v1, v5 :: v_dual_add_f32 v15, v0, v4
	v_dual_mul_f32 v14, s4, v8 :: v_dual_mul_f32 v13, s4, v11
	s_delay_alu instid0(VALU_DEP_2)
	v_dual_mul_f32 v12, s4, v12 :: v_dual_mul_f32 v11, s4, v15
	global_store_b128 v9, v[11:14], s[0:1]
	s_or_b32 exec_lo, exec_lo, s3
	s_and_saveexec_b32 s3, s2
	s_cbranch_execz .LBB2_6
.LBB2_8:
	v_dual_sub_f32 v0, v0, v4 :: v_dual_sub_f32 v1, v1, v5
	v_dual_sub_f32 v2, v2, v6 :: v_dual_sub_f32 v3, v3, v7
	s_delay_alu instid0(VALU_DEP_2) | instskip(NEXT) | instid1(VALU_DEP_2)
	v_dual_mul_f32 v0, s4, v0 :: v_dual_mul_f32 v1, s4, v1
	v_dual_mul_f32 v2, s4, v2 :: v_dual_mul_f32 v3, s4, v3
	global_store_b128 v10, v[0:3], s[0:1]
	s_nop 0
	s_sendmsg sendmsg(MSG_DEALLOC_VGPRS)
	s_endpgm
	.section	.rodata,"a",@progbits
	.p2align	6, 0x0
	.amdhsa_kernel _Z30fast_hadamard_transform_kernelI37fast_hadamard_transform_kernel_traitsILi4ELi5EfEEv18HadamardParamsBase
		.amdhsa_group_segment_fixed_size 0
		.amdhsa_private_segment_fixed_size 0
		.amdhsa_kernarg_size 312
		.amdhsa_user_sgpr_count 15
		.amdhsa_user_sgpr_dispatch_ptr 0
		.amdhsa_user_sgpr_queue_ptr 0
		.amdhsa_user_sgpr_kernarg_segment_ptr 1
		.amdhsa_user_sgpr_dispatch_id 0
		.amdhsa_user_sgpr_private_segment_size 0
		.amdhsa_wavefront_size32 1
		.amdhsa_uses_dynamic_stack 0
		.amdhsa_enable_private_segment 0
		.amdhsa_system_sgpr_workgroup_id_x 1
		.amdhsa_system_sgpr_workgroup_id_y 0
		.amdhsa_system_sgpr_workgroup_id_z 0
		.amdhsa_system_sgpr_workgroup_info 0
		.amdhsa_system_vgpr_workitem_id 0
		.amdhsa_next_free_vgpr 22
		.amdhsa_next_free_sgpr 16
		.amdhsa_reserve_vcc 1
		.amdhsa_float_round_mode_32 0
		.amdhsa_float_round_mode_16_64 0
		.amdhsa_float_denorm_mode_32 3
		.amdhsa_float_denorm_mode_16_64 3
		.amdhsa_dx10_clamp 1
		.amdhsa_ieee_mode 1
		.amdhsa_fp16_overflow 0
		.amdhsa_workgroup_processor_mode 1
		.amdhsa_memory_ordered 1
		.amdhsa_forward_progress 0
		.amdhsa_shared_vgpr_count 0
		.amdhsa_exception_fp_ieee_invalid_op 0
		.amdhsa_exception_fp_denorm_src 0
		.amdhsa_exception_fp_ieee_div_zero 0
		.amdhsa_exception_fp_ieee_overflow 0
		.amdhsa_exception_fp_ieee_underflow 0
		.amdhsa_exception_fp_ieee_inexact 0
		.amdhsa_exception_int_div_zero 0
	.end_amdhsa_kernel
	.section	.text._Z30fast_hadamard_transform_kernelI37fast_hadamard_transform_kernel_traitsILi4ELi5EfEEv18HadamardParamsBase,"axG",@progbits,_Z30fast_hadamard_transform_kernelI37fast_hadamard_transform_kernel_traitsILi4ELi5EfEEv18HadamardParamsBase,comdat
.Lfunc_end2:
	.size	_Z30fast_hadamard_transform_kernelI37fast_hadamard_transform_kernel_traitsILi4ELi5EfEEv18HadamardParamsBase, .Lfunc_end2-_Z30fast_hadamard_transform_kernelI37fast_hadamard_transform_kernel_traitsILi4ELi5EfEEv18HadamardParamsBase
                                        ; -- End function
	.section	.AMDGPU.csdata,"",@progbits
; Kernel info:
; codeLenInByte = 912
; NumSgprs: 18
; NumVgprs: 22
; ScratchSize: 0
; MemoryBound: 0
; FloatMode: 240
; IeeeMode: 1
; LDSByteSize: 0 bytes/workgroup (compile time only)
; SGPRBlocks: 2
; VGPRBlocks: 2
; NumSGPRsForWavesPerEU: 18
; NumVGPRsForWavesPerEU: 22
; Occupancy: 16
; WaveLimiterHint : 0
; COMPUTE_PGM_RSRC2:SCRATCH_EN: 0
; COMPUTE_PGM_RSRC2:USER_SGPR: 15
; COMPUTE_PGM_RSRC2:TRAP_HANDLER: 0
; COMPUTE_PGM_RSRC2:TGID_X_EN: 1
; COMPUTE_PGM_RSRC2:TGID_Y_EN: 0
; COMPUTE_PGM_RSRC2:TGID_Z_EN: 0
; COMPUTE_PGM_RSRC2:TIDIG_COMP_CNT: 0
	.section	.text._Z30fast_hadamard_transform_kernelI37fast_hadamard_transform_kernel_traitsILi8ELi6EfEEv18HadamardParamsBase,"axG",@progbits,_Z30fast_hadamard_transform_kernelI37fast_hadamard_transform_kernel_traitsILi8ELi6EfEEv18HadamardParamsBase,comdat
	.protected	_Z30fast_hadamard_transform_kernelI37fast_hadamard_transform_kernel_traitsILi8ELi6EfEEv18HadamardParamsBase ; -- Begin function _Z30fast_hadamard_transform_kernelI37fast_hadamard_transform_kernel_traitsILi8ELi6EfEEv18HadamardParamsBase
	.globl	_Z30fast_hadamard_transform_kernelI37fast_hadamard_transform_kernel_traitsILi8ELi6EfEEv18HadamardParamsBase
	.p2align	8
	.type	_Z30fast_hadamard_transform_kernelI37fast_hadamard_transform_kernel_traitsILi8ELi6EfEEv18HadamardParamsBase,@function
_Z30fast_hadamard_transform_kernelI37fast_hadamard_transform_kernel_traitsILi8ELi6EfEEv18HadamardParamsBase: ; @_Z30fast_hadamard_transform_kernelI37fast_hadamard_transform_kernel_traitsILi8ELi6EfEEv18HadamardParamsBase
; %bb.0:
	s_clause 0x3
	s_load_b128 s[8:11], s[0:1], 0x10
	s_load_b32 s2, s[0:1], 0x4
	s_load_b128 s[4:7], s[0:1], 0x28
	s_load_b32 s3, s[0:1], 0x44
	s_ashr_i32 s12, s15, 31
	v_dual_mov_b32 v5, 0 :: v_dual_lshlrev_b32 v2, 2, v0
	v_dual_mov_b32 v1, 0 :: v_dual_mov_b32 v6, 0
	v_dual_mov_b32 v7, 0 :: v_dual_mov_b32 v8, 0
	v_lshlrev_b32_e32 v9, 4, v0
	s_waitcnt lgkmcnt(0)
	s_mul_hi_u32 s13, s8, s15
	s_mul_i32 s14, s8, s12
	s_mul_i32 s9, s9, s15
	s_add_i32 s13, s13, s14
	s_mul_i32 s8, s8, s15
	s_add_i32 s9, s13, s9
	v_cmp_gt_u32_e32 vcc_lo, s2, v2
	s_lshl_b64 s[8:9], s[8:9], 2
	s_delay_alu instid0(SALU_CYCLE_1)
	s_add_u32 s4, s4, s8
	s_addc_u32 s5, s5, s9
	s_and_saveexec_b32 s8, vcc_lo
	s_cbranch_execz .LBB3_2
; %bb.1:
	global_load_b128 v[5:8], v9, s[4:5]
.LBB3_2:
	s_or_b32 exec_lo, exec_lo, s8
	s_and_b32 s3, 0xffff, s3
	s_delay_alu instid0(SALU_CYCLE_1) | instskip(NEXT) | instid1(VALU_DEP_1)
	v_dual_mov_b32 v3, 0 :: v_dual_add_nc_u32 v4, s3, v0
	v_dual_mov_b32 v2, 0 :: v_dual_lshlrev_b32 v11, 2, v4
	v_lshlrev_b32_e32 v10, 4, v4
	v_mov_b32_e32 v4, 0
	s_delay_alu instid0(VALU_DEP_3) | instskip(NEXT) | instid1(VALU_DEP_1)
	v_cmp_gt_u32_e64 s2, s2, v11
	s_and_saveexec_b32 s3, s2
	s_cbranch_execz .LBB3_4
; %bb.3:
	global_load_b128 v[1:4], v10, s[4:5]
.LBB3_4:
	s_or_b32 exec_lo, exec_lo, s3
	v_mbcnt_lo_u32_b32 v11, -1, 0
	s_waitcnt vmcnt(0)
	v_add_f32_e32 v12, v5, v6
	v_sub_f32_e32 v5, v5, v6
	v_add_f32_e32 v13, v1, v2
	v_sub_f32_e32 v1, v1, v2
	v_xor_b32_e32 v6, 1, v11
	v_add_f32_e32 v2, v7, v8
	v_sub_f32_e32 v7, v7, v8
	v_add_f32_e32 v8, v3, v4
	v_sub_f32_e32 v3, v3, v4
	v_cmp_gt_i32_e64 s3, 32, v6
	v_add_f32_e32 v14, v12, v2
	v_and_b32_e32 v4, 1, v0
	v_and_b32_e32 v16, 2, v0
	v_sub_f32_e32 v2, v12, v2
	v_cndmask_b32_e64 v6, v11, v6, s3
	v_add_f32_e32 v15, v5, v7
	v_cmp_eq_u32_e64 s3, 0, v4
	v_sub_f32_e32 v5, v5, v7
	s_delay_alu instid0(VALU_DEP_4)
	v_dual_add_f32 v7, v1, v3 :: v_dual_lshlrev_b32 v6, 2, v6
	v_xor_b32_e32 v4, 4, v11
	ds_bpermute_b32 v17, v6, v14
	ds_bpermute_b32 v18, v6, v15
	v_cndmask_b32_e64 v14, -v14, v14, s3
	v_sub_f32_e32 v1, v1, v3
	v_xor_b32_e32 v3, 2, v11
	ds_bpermute_b32 v19, v6, v5
	ds_bpermute_b32 v21, v6, v7
	v_cndmask_b32_e64 v15, -v15, v15, s3
	v_cndmask_b32_e64 v5, -v5, v5, s3
	v_cmp_gt_i32_e64 s4, 32, v3
	v_cndmask_b32_e64 v7, -v7, v7, s3
	s_delay_alu instid0(VALU_DEP_2)
	v_cndmask_b32_e64 v3, v11, v3, s4
	v_add_f32_e32 v12, v13, v8
	v_sub_f32_e32 v8, v13, v8
	ds_bpermute_b32 v13, v6, v2
	v_cndmask_b32_e64 v2, -v2, v2, s3
	v_lshlrev_b32_e32 v3, 2, v3
	ds_bpermute_b32 v20, v6, v12
	s_waitcnt lgkmcnt(4)
	v_dual_add_f32 v15, v15, v18 :: v_dual_add_f32 v14, v14, v17
	ds_bpermute_b32 v17, v6, v8
	ds_bpermute_b32 v6, v6, v1
	v_cndmask_b32_e64 v12, -v12, v12, s3
	ds_bpermute_b32 v22, v3, v15
	ds_bpermute_b32 v18, v3, v14
	v_cndmask_b32_e64 v8, -v8, v8, s3
	v_cndmask_b32_e64 v1, -v1, v1, s3
	s_waitcnt lgkmcnt(7)
	v_add_f32_e32 v5, v5, v19
	v_cmp_eq_u32_e64 s3, 0, v16
	v_cmp_gt_i32_e64 s4, 32, v4
	s_waitcnt lgkmcnt(6)
	v_add_f32_e32 v7, v7, v21
	ds_bpermute_b32 v16, v3, v5
	v_cndmask_b32_e64 v14, -v14, v14, s3
	s_waitcnt lgkmcnt(6)
	v_add_f32_e32 v2, v2, v13
	v_cndmask_b32_e64 v15, -v15, v15, s3
	v_cndmask_b32_e64 v4, v11, v4, s4
	s_waitcnt lgkmcnt(5)
	v_add_f32_e32 v12, v12, v20
	ds_bpermute_b32 v20, v3, v7
	ds_bpermute_b32 v13, v3, v2
	s_waitcnt lgkmcnt(5)
	v_dual_add_f32 v8, v8, v17 :: v_dual_add_f32 v1, v1, v6
	ds_bpermute_b32 v19, v3, v12
	v_cndmask_b32_e64 v5, -v5, v5, s3
	s_waitcnt lgkmcnt(4)
	v_add_f32_e32 v6, v14, v18
	ds_bpermute_b32 v14, v3, v8
	ds_bpermute_b32 v3, v3, v1
	v_dual_add_f32 v11, v15, v22 :: v_dual_lshlrev_b32 v4, 2, v4
	v_cndmask_b32_e64 v2, -v2, v2, s3
	v_cndmask_b32_e64 v7, -v7, v7, s3
	;; [unrolled: 1-line block ×3, first 2 shown]
	s_waitcnt lgkmcnt(5)
	v_add_f32_e32 v5, v5, v16
	ds_bpermute_b32 v15, v4, v11
	v_and_b32_e32 v0, 4, v0
	v_cndmask_b32_e64 v8, -v8, v8, s3
	v_cndmask_b32_e64 v1, -v1, v1, s3
	ds_bpermute_b32 v17, v4, v5
	s_waitcnt lgkmcnt(5)
	v_dual_add_f32 v7, v7, v20 :: v_dual_add_f32 v2, v2, v13
	v_cmp_eq_u32_e64 s3, 0, v0
	ds_bpermute_b32 v13, v4, v6
	s_load_b32 s4, s[0:1], 0x20
	s_mul_i32 s0, s10, s12
	ds_bpermute_b32 v16, v4, v2
	v_cndmask_b32_e64 v0, -v6, v6, s3
	s_waitcnt lgkmcnt(0)
	v_add_f32_e32 v6, v1, v3
	v_cndmask_b32_e64 v3, -v5, v5, s3
	v_add_f32_e32 v12, v12, v19
	ds_bpermute_b32 v19, v4, v7
	v_cndmask_b32_e64 v5, -v7, v7, s3
	v_add_f32_e32 v8, v8, v14
	s_mul_hi_u32 s1, s10, s15
	v_cndmask_b32_e64 v1, -v11, v11, s3
	v_cndmask_b32_e64 v2, -v2, v2, s3
	s_add_i32 s0, s1, s0
	s_mul_i32 s1, s11, s15
	v_add_f32_e32 v3, v3, v17
	ds_bpermute_b32 v18, v4, v12
	s_add_i32 s1, s0, s1
	s_mul_i32 s0, s10, s15
	v_add_f32_e32 v0, v0, v13
	ds_bpermute_b32 v13, v4, v6
	v_dual_add_f32 v1, v1, v15 :: v_dual_add_f32 v2, v2, v16
	s_lshl_b64 s[0:1], s[0:1], 2
	s_delay_alu instid0(SALU_CYCLE_1)
	s_add_u32 s0, s6, s0
	s_addc_u32 s1, s7, s1
	s_waitcnt lgkmcnt(2)
	v_add_f32_e32 v5, v5, v19
	ds_bpermute_b32 v14, v4, v8
	v_cndmask_b32_e64 v4, -v12, v12, s3
	v_cndmask_b32_e64 v7, -v8, v8, s3
	;; [unrolled: 1-line block ×3, first 2 shown]
	s_waitcnt lgkmcnt(2)
	s_delay_alu instid0(VALU_DEP_3) | instskip(SKIP_1) | instid1(VALU_DEP_2)
	v_add_f32_e32 v4, v4, v18
	s_waitcnt lgkmcnt(0)
	v_dual_add_f32 v6, v7, v14 :: v_dual_add_f32 v7, v8, v13
	s_and_saveexec_b32 s3, vcc_lo
	s_cbranch_execnz .LBB3_7
; %bb.5:
	s_or_b32 exec_lo, exec_lo, s3
	s_and_saveexec_b32 s3, s2
	s_cbranch_execnz .LBB3_8
.LBB3_6:
	s_nop 0
	s_sendmsg sendmsg(MSG_DEALLOC_VGPRS)
	s_endpgm
.LBB3_7:
	s_delay_alu instid0(VALU_DEP_1) | instskip(SKIP_1) | instid1(VALU_DEP_2)
	v_dual_add_f32 v8, v3, v7 :: v_dual_add_f32 v11, v2, v6
	v_dual_add_f32 v12, v1, v5 :: v_dual_add_f32 v15, v0, v4
	v_dual_mul_f32 v14, s4, v8 :: v_dual_mul_f32 v13, s4, v11
	s_delay_alu instid0(VALU_DEP_2)
	v_dual_mul_f32 v12, s4, v12 :: v_dual_mul_f32 v11, s4, v15
	global_store_b128 v9, v[11:14], s[0:1]
	s_or_b32 exec_lo, exec_lo, s3
	s_and_saveexec_b32 s3, s2
	s_cbranch_execz .LBB3_6
.LBB3_8:
	v_dual_sub_f32 v0, v0, v4 :: v_dual_sub_f32 v1, v1, v5
	v_dual_sub_f32 v2, v2, v6 :: v_dual_sub_f32 v3, v3, v7
	s_delay_alu instid0(VALU_DEP_2) | instskip(NEXT) | instid1(VALU_DEP_2)
	v_dual_mul_f32 v0, s4, v0 :: v_dual_mul_f32 v1, s4, v1
	v_dual_mul_f32 v2, s4, v2 :: v_dual_mul_f32 v3, s4, v3
	global_store_b128 v10, v[0:3], s[0:1]
	s_nop 0
	s_sendmsg sendmsg(MSG_DEALLOC_VGPRS)
	s_endpgm
	.section	.rodata,"a",@progbits
	.p2align	6, 0x0
	.amdhsa_kernel _Z30fast_hadamard_transform_kernelI37fast_hadamard_transform_kernel_traitsILi8ELi6EfEEv18HadamardParamsBase
		.amdhsa_group_segment_fixed_size 0
		.amdhsa_private_segment_fixed_size 0
		.amdhsa_kernarg_size 312
		.amdhsa_user_sgpr_count 15
		.amdhsa_user_sgpr_dispatch_ptr 0
		.amdhsa_user_sgpr_queue_ptr 0
		.amdhsa_user_sgpr_kernarg_segment_ptr 1
		.amdhsa_user_sgpr_dispatch_id 0
		.amdhsa_user_sgpr_private_segment_size 0
		.amdhsa_wavefront_size32 1
		.amdhsa_uses_dynamic_stack 0
		.amdhsa_enable_private_segment 0
		.amdhsa_system_sgpr_workgroup_id_x 1
		.amdhsa_system_sgpr_workgroup_id_y 0
		.amdhsa_system_sgpr_workgroup_id_z 0
		.amdhsa_system_sgpr_workgroup_info 0
		.amdhsa_system_vgpr_workitem_id 0
		.amdhsa_next_free_vgpr 23
		.amdhsa_next_free_sgpr 16
		.amdhsa_reserve_vcc 1
		.amdhsa_float_round_mode_32 0
		.amdhsa_float_round_mode_16_64 0
		.amdhsa_float_denorm_mode_32 3
		.amdhsa_float_denorm_mode_16_64 3
		.amdhsa_dx10_clamp 1
		.amdhsa_ieee_mode 1
		.amdhsa_fp16_overflow 0
		.amdhsa_workgroup_processor_mode 1
		.amdhsa_memory_ordered 1
		.amdhsa_forward_progress 0
		.amdhsa_shared_vgpr_count 0
		.amdhsa_exception_fp_ieee_invalid_op 0
		.amdhsa_exception_fp_denorm_src 0
		.amdhsa_exception_fp_ieee_div_zero 0
		.amdhsa_exception_fp_ieee_overflow 0
		.amdhsa_exception_fp_ieee_underflow 0
		.amdhsa_exception_fp_ieee_inexact 0
		.amdhsa_exception_int_div_zero 0
	.end_amdhsa_kernel
	.section	.text._Z30fast_hadamard_transform_kernelI37fast_hadamard_transform_kernel_traitsILi8ELi6EfEEv18HadamardParamsBase,"axG",@progbits,_Z30fast_hadamard_transform_kernelI37fast_hadamard_transform_kernel_traitsILi8ELi6EfEEv18HadamardParamsBase,comdat
.Lfunc_end3:
	.size	_Z30fast_hadamard_transform_kernelI37fast_hadamard_transform_kernel_traitsILi8ELi6EfEEv18HadamardParamsBase, .Lfunc_end3-_Z30fast_hadamard_transform_kernelI37fast_hadamard_transform_kernel_traitsILi8ELi6EfEEv18HadamardParamsBase
                                        ; -- End function
	.section	.AMDGPU.csdata,"",@progbits
; Kernel info:
; codeLenInByte = 1128
; NumSgprs: 18
; NumVgprs: 23
; ScratchSize: 0
; MemoryBound: 0
; FloatMode: 240
; IeeeMode: 1
; LDSByteSize: 0 bytes/workgroup (compile time only)
; SGPRBlocks: 2
; VGPRBlocks: 2
; NumSGPRsForWavesPerEU: 18
; NumVGPRsForWavesPerEU: 23
; Occupancy: 16
; WaveLimiterHint : 0
; COMPUTE_PGM_RSRC2:SCRATCH_EN: 0
; COMPUTE_PGM_RSRC2:USER_SGPR: 15
; COMPUTE_PGM_RSRC2:TRAP_HANDLER: 0
; COMPUTE_PGM_RSRC2:TGID_X_EN: 1
; COMPUTE_PGM_RSRC2:TGID_Y_EN: 0
; COMPUTE_PGM_RSRC2:TGID_Z_EN: 0
; COMPUTE_PGM_RSRC2:TIDIG_COMP_CNT: 0
	.section	.text._Z30fast_hadamard_transform_kernelI37fast_hadamard_transform_kernel_traitsILi16ELi7EfEEv18HadamardParamsBase,"axG",@progbits,_Z30fast_hadamard_transform_kernelI37fast_hadamard_transform_kernel_traitsILi16ELi7EfEEv18HadamardParamsBase,comdat
	.protected	_Z30fast_hadamard_transform_kernelI37fast_hadamard_transform_kernel_traitsILi16ELi7EfEEv18HadamardParamsBase ; -- Begin function _Z30fast_hadamard_transform_kernelI37fast_hadamard_transform_kernel_traitsILi16ELi7EfEEv18HadamardParamsBase
	.globl	_Z30fast_hadamard_transform_kernelI37fast_hadamard_transform_kernel_traitsILi16ELi7EfEEv18HadamardParamsBase
	.p2align	8
	.type	_Z30fast_hadamard_transform_kernelI37fast_hadamard_transform_kernel_traitsILi16ELi7EfEEv18HadamardParamsBase,@function
_Z30fast_hadamard_transform_kernelI37fast_hadamard_transform_kernel_traitsILi16ELi7EfEEv18HadamardParamsBase: ; @_Z30fast_hadamard_transform_kernelI37fast_hadamard_transform_kernel_traitsILi16ELi7EfEEv18HadamardParamsBase
; %bb.0:
	s_clause 0x3
	s_load_b128 s[8:11], s[0:1], 0x10
	s_load_b32 s2, s[0:1], 0x4
	s_load_b128 s[4:7], s[0:1], 0x28
	s_load_b32 s3, s[0:1], 0x44
	s_ashr_i32 s12, s15, 31
	v_dual_mov_b32 v5, 0 :: v_dual_lshlrev_b32 v2, 2, v0
	v_dual_mov_b32 v1, 0 :: v_dual_mov_b32 v6, 0
	v_dual_mov_b32 v7, 0 :: v_dual_mov_b32 v8, 0
	v_lshlrev_b32_e32 v9, 4, v0
	s_waitcnt lgkmcnt(0)
	s_mul_hi_u32 s13, s8, s15
	s_mul_i32 s14, s8, s12
	s_mul_i32 s9, s9, s15
	s_add_i32 s13, s13, s14
	s_mul_i32 s8, s8, s15
	s_add_i32 s9, s13, s9
	v_cmp_gt_u32_e32 vcc_lo, s2, v2
	s_lshl_b64 s[8:9], s[8:9], 2
	s_delay_alu instid0(SALU_CYCLE_1)
	s_add_u32 s4, s4, s8
	s_addc_u32 s5, s5, s9
	s_and_saveexec_b32 s8, vcc_lo
	s_cbranch_execz .LBB4_2
; %bb.1:
	global_load_b128 v[5:8], v9, s[4:5]
.LBB4_2:
	s_or_b32 exec_lo, exec_lo, s8
	s_and_b32 s3, 0xffff, s3
	s_delay_alu instid0(SALU_CYCLE_1) | instskip(NEXT) | instid1(VALU_DEP_1)
	v_dual_mov_b32 v3, 0 :: v_dual_add_nc_u32 v4, s3, v0
	v_dual_mov_b32 v2, 0 :: v_dual_lshlrev_b32 v11, 2, v4
	v_lshlrev_b32_e32 v10, 4, v4
	v_mov_b32_e32 v4, 0
	s_delay_alu instid0(VALU_DEP_3) | instskip(NEXT) | instid1(VALU_DEP_1)
	v_cmp_gt_u32_e64 s2, s2, v11
	s_and_saveexec_b32 s3, s2
	s_cbranch_execz .LBB4_4
; %bb.3:
	global_load_b128 v[1:4], v10, s[4:5]
.LBB4_4:
	s_or_b32 exec_lo, exec_lo, s3
	v_mbcnt_lo_u32_b32 v11, -1, 0
	s_waitcnt vmcnt(0)
	v_add_f32_e32 v12, v5, v6
	v_sub_f32_e32 v5, v5, v6
	v_add_f32_e32 v13, v1, v2
	v_sub_f32_e32 v1, v1, v2
	v_xor_b32_e32 v6, 1, v11
	v_add_f32_e32 v2, v7, v8
	v_sub_f32_e32 v7, v7, v8
	v_add_f32_e32 v8, v3, v4
	v_sub_f32_e32 v3, v3, v4
	v_cmp_gt_i32_e64 s3, 32, v6
	v_add_f32_e32 v14, v12, v2
	v_and_b32_e32 v4, 1, v0
	v_and_b32_e32 v16, 2, v0
	v_sub_f32_e32 v2, v12, v2
	v_cndmask_b32_e64 v6, v11, v6, s3
	v_add_f32_e32 v15, v5, v7
	v_cmp_eq_u32_e64 s3, 0, v4
	v_sub_f32_e32 v5, v5, v7
	s_delay_alu instid0(VALU_DEP_4) | instskip(NEXT) | instid1(VALU_DEP_3)
	v_dual_add_f32 v7, v1, v3 :: v_dual_lshlrev_b32 v6, 2, v6
	v_cndmask_b32_e64 v4, -v14, v14, s3
	ds_bpermute_b32 v17, v6, v14
	ds_bpermute_b32 v18, v6, v15
	v_sub_f32_e32 v1, v1, v3
	v_xor_b32_e32 v3, 2, v11
	ds_bpermute_b32 v19, v6, v2
	ds_bpermute_b32 v14, v6, v5
	ds_bpermute_b32 v21, v6, v7
	v_cndmask_b32_e64 v15, -v15, v15, s3
	v_cmp_gt_i32_e64 s4, 32, v3
	v_cndmask_b32_e64 v2, -v2, v2, s3
	v_cndmask_b32_e64 v5, -v5, v5, s3
	;; [unrolled: 1-line block ×3, first 2 shown]
	s_delay_alu instid0(VALU_DEP_4) | instskip(SKIP_3) | instid1(VALU_DEP_4)
	v_cndmask_b32_e64 v3, v11, v3, s4
	v_add_f32_e32 v12, v13, v8
	v_sub_f32_e32 v8, v13, v8
	v_xor_b32_e32 v13, 4, v11
	v_lshlrev_b32_e32 v3, 2, v3
	ds_bpermute_b32 v20, v6, v12
	s_waitcnt lgkmcnt(4)
	v_dual_add_f32 v4, v4, v17 :: v_dual_add_f32 v15, v15, v18
	ds_bpermute_b32 v17, v6, v8
	ds_bpermute_b32 v6, v6, v1
	v_cndmask_b32_e64 v12, -v12, v12, s3
	s_waitcnt lgkmcnt(4)
	v_dual_add_f32 v2, v2, v19 :: v_dual_add_f32 v5, v5, v14
	ds_bpermute_b32 v22, v3, v15
	v_cndmask_b32_e64 v8, -v8, v8, s3
	v_cndmask_b32_e64 v1, -v1, v1, s3
	v_cmp_eq_u32_e64 s3, 0, v16
	ds_bpermute_b32 v18, v3, v4
	ds_bpermute_b32 v14, v3, v2
	ds_bpermute_b32 v16, v3, v5
	v_cmp_gt_i32_e64 s4, 32, v13
	s_waitcnt lgkmcnt(7)
	v_add_f32_e32 v7, v7, v21
	v_cndmask_b32_e64 v15, -v15, v15, s3
	v_cndmask_b32_e64 v5, -v5, v5, s3
	;; [unrolled: 1-line block ×3, first 2 shown]
	s_waitcnt lgkmcnt(6)
	v_add_f32_e32 v12, v12, v20
	ds_bpermute_b32 v20, v3, v7
	v_cndmask_b32_e64 v13, v11, v13, s4
	s_waitcnt lgkmcnt(5)
	v_dual_add_f32 v8, v8, v17 :: v_dual_add_f32 v1, v1, v6
	ds_bpermute_b32 v19, v3, v12
	v_cndmask_b32_e64 v2, -v2, v2, s3
	v_cndmask_b32_e64 v7, -v7, v7, s3
	s_waitcnt lgkmcnt(5)
	v_add_f32_e32 v6, v15, v22
	ds_bpermute_b32 v15, v3, v8
	ds_bpermute_b32 v3, v3, v1
	s_waitcnt lgkmcnt(6)
	v_dual_add_f32 v4, v4, v18 :: v_dual_lshlrev_b32 v13, 2, v13
	s_waitcnt lgkmcnt(4)
	v_dual_add_f32 v2, v2, v14 :: v_dual_add_f32 v5, v5, v16
	v_cndmask_b32_e64 v1, -v1, v1, s3
	v_and_b32_e32 v16, 4, v0
	v_cndmask_b32_e64 v12, -v12, v12, s3
	ds_bpermute_b32 v17, v13, v4
	v_cndmask_b32_e64 v8, -v8, v8, s3
	v_xor_b32_e32 v21, 8, v11
	s_waitcnt lgkmcnt(4)
	v_add_f32_e32 v7, v7, v20
	ds_bpermute_b32 v14, v13, v6
	ds_bpermute_b32 v18, v13, v2
	v_and_b32_e32 v0, 8, v0
	v_cmp_gt_i32_e64 s4, 32, v21
	ds_bpermute_b32 v20, v13, v7
	s_waitcnt lgkmcnt(4)
	v_add_f32_e32 v1, v1, v3
	v_cmp_eq_u32_e64 s3, 0, v16
	ds_bpermute_b32 v16, v13, v5
	v_cndmask_b32_e64 v4, -v4, v4, s3
	v_cndmask_b32_e64 v5, -v5, v5, s3
	v_add_f32_e32 v12, v12, v19
	v_cndmask_b32_e64 v7, -v7, v7, s3
	v_add_f32_e32 v8, v8, v15
	v_cndmask_b32_e64 v6, -v6, v6, s3
	s_waitcnt lgkmcnt(4)
	v_add_f32_e32 v3, v4, v17
	v_cndmask_b32_e64 v4, v11, v21, s4
	v_cndmask_b32_e64 v2, -v2, v2, s3
	s_load_b32 s4, s[0:1], 0x20
	s_waitcnt lgkmcnt(0)
	v_dual_add_f32 v6, v6, v14 :: v_dual_add_f32 v7, v7, v20
	ds_bpermute_b32 v11, v13, v8
	v_cndmask_b32_e64 v8, -v8, v8, s3
	s_mul_i32 s0, s10, s12
	s_mul_hi_u32 s1, s10, s15
	v_add_f32_e32 v5, v5, v16
	ds_bpermute_b32 v19, v13, v12
	ds_bpermute_b32 v13, v13, v1
	v_cndmask_b32_e64 v1, -v1, v1, s3
	v_lshlrev_b32_e32 v4, 2, v4
	v_cndmask_b32_e64 v12, -v12, v12, s3
	v_cmp_eq_u32_e64 s3, 0, v0
	s_add_i32 s0, s1, s0
	s_mul_i32 s1, s11, s15
	s_delay_alu instid0(SALU_CYCLE_1) | instskip(NEXT) | instid1(VALU_DEP_1)
	s_add_i32 s1, s0, s1
	v_cndmask_b32_e64 v0, -v3, v3, s3
	s_mul_i32 s0, s10, s15
	s_delay_alu instid0(SALU_CYCLE_1)
	s_lshl_b64 s[0:1], s[0:1], 2
	s_waitcnt lgkmcnt(2)
	v_add_f32_e32 v8, v8, v11
	s_add_u32 s0, s6, s0
	s_addc_u32 s1, s7, s1
	s_waitcnt lgkmcnt(0)
	v_add_f32_e32 v11, v1, v13
	ds_bpermute_b32 v14, v4, v3
	ds_bpermute_b32 v15, v4, v6
	;; [unrolled: 1-line block ×3, first 2 shown]
	v_cndmask_b32_e64 v1, -v6, v6, s3
	v_add_f32_e32 v2, v2, v18
	v_cndmask_b32_e64 v3, -v5, v5, s3
	v_add_f32_e32 v12, v12, v19
	ds_bpermute_b32 v19, v4, v7
	v_cndmask_b32_e64 v5, -v7, v7, s3
	v_cndmask_b32_e64 v7, -v11, v11, s3
	s_waitcnt lgkmcnt(3)
	v_add_f32_e32 v0, v0, v14
	ds_bpermute_b32 v14, v4, v11
	s_waitcnt lgkmcnt(2)
	v_add_f32_e32 v3, v3, v17
	ds_bpermute_b32 v18, v4, v12
	v_add_f32_e32 v1, v1, v15
	ds_bpermute_b32 v16, v4, v2
	v_cndmask_b32_e64 v2, -v2, v2, s3
	s_waitcnt lgkmcnt(3)
	v_add_f32_e32 v5, v5, v19
	s_waitcnt lgkmcnt(2)
	v_add_f32_e32 v7, v7, v14
	ds_bpermute_b32 v13, v4, v8
	v_cndmask_b32_e64 v4, -v12, v12, s3
	v_cndmask_b32_e64 v6, -v8, v8, s3
	s_waitcnt lgkmcnt(1)
	v_add_f32_e32 v2, v2, v16
	s_delay_alu instid0(VALU_DEP_3)
	v_add_f32_e32 v4, v4, v18
	s_waitcnt lgkmcnt(0)
	v_add_f32_e32 v6, v6, v13
	s_and_saveexec_b32 s3, vcc_lo
	s_cbranch_execnz .LBB4_7
; %bb.5:
	s_or_b32 exec_lo, exec_lo, s3
	s_and_saveexec_b32 s3, s2
	s_cbranch_execnz .LBB4_8
.LBB4_6:
	s_nop 0
	s_sendmsg sendmsg(MSG_DEALLOC_VGPRS)
	s_endpgm
.LBB4_7:
	s_delay_alu instid0(VALU_DEP_1) | instskip(SKIP_1) | instid1(VALU_DEP_2)
	v_dual_add_f32 v8, v3, v7 :: v_dual_add_f32 v11, v2, v6
	v_dual_add_f32 v12, v1, v5 :: v_dual_add_f32 v15, v0, v4
	v_dual_mul_f32 v14, s4, v8 :: v_dual_mul_f32 v13, s4, v11
	s_delay_alu instid0(VALU_DEP_2)
	v_dual_mul_f32 v12, s4, v12 :: v_dual_mul_f32 v11, s4, v15
	global_store_b128 v9, v[11:14], s[0:1]
	s_or_b32 exec_lo, exec_lo, s3
	s_and_saveexec_b32 s3, s2
	s_cbranch_execz .LBB4_6
.LBB4_8:
	v_dual_sub_f32 v0, v0, v4 :: v_dual_sub_f32 v1, v1, v5
	v_dual_sub_f32 v2, v2, v6 :: v_dual_sub_f32 v3, v3, v7
	s_delay_alu instid0(VALU_DEP_2) | instskip(NEXT) | instid1(VALU_DEP_2)
	v_dual_mul_f32 v0, s4, v0 :: v_dual_mul_f32 v1, s4, v1
	v_dual_mul_f32 v2, s4, v2 :: v_dual_mul_f32 v3, s4, v3
	global_store_b128 v10, v[0:3], s[0:1]
	s_nop 0
	s_sendmsg sendmsg(MSG_DEALLOC_VGPRS)
	s_endpgm
	.section	.rodata,"a",@progbits
	.p2align	6, 0x0
	.amdhsa_kernel _Z30fast_hadamard_transform_kernelI37fast_hadamard_transform_kernel_traitsILi16ELi7EfEEv18HadamardParamsBase
		.amdhsa_group_segment_fixed_size 0
		.amdhsa_private_segment_fixed_size 0
		.amdhsa_kernarg_size 312
		.amdhsa_user_sgpr_count 15
		.amdhsa_user_sgpr_dispatch_ptr 0
		.amdhsa_user_sgpr_queue_ptr 0
		.amdhsa_user_sgpr_kernarg_segment_ptr 1
		.amdhsa_user_sgpr_dispatch_id 0
		.amdhsa_user_sgpr_private_segment_size 0
		.amdhsa_wavefront_size32 1
		.amdhsa_uses_dynamic_stack 0
		.amdhsa_enable_private_segment 0
		.amdhsa_system_sgpr_workgroup_id_x 1
		.amdhsa_system_sgpr_workgroup_id_y 0
		.amdhsa_system_sgpr_workgroup_id_z 0
		.amdhsa_system_sgpr_workgroup_info 0
		.amdhsa_system_vgpr_workitem_id 0
		.amdhsa_next_free_vgpr 23
		.amdhsa_next_free_sgpr 16
		.amdhsa_reserve_vcc 1
		.amdhsa_float_round_mode_32 0
		.amdhsa_float_round_mode_16_64 0
		.amdhsa_float_denorm_mode_32 3
		.amdhsa_float_denorm_mode_16_64 3
		.amdhsa_dx10_clamp 1
		.amdhsa_ieee_mode 1
		.amdhsa_fp16_overflow 0
		.amdhsa_workgroup_processor_mode 1
		.amdhsa_memory_ordered 1
		.amdhsa_forward_progress 0
		.amdhsa_shared_vgpr_count 0
		.amdhsa_exception_fp_ieee_invalid_op 0
		.amdhsa_exception_fp_denorm_src 0
		.amdhsa_exception_fp_ieee_div_zero 0
		.amdhsa_exception_fp_ieee_overflow 0
		.amdhsa_exception_fp_ieee_underflow 0
		.amdhsa_exception_fp_ieee_inexact 0
		.amdhsa_exception_int_div_zero 0
	.end_amdhsa_kernel
	.section	.text._Z30fast_hadamard_transform_kernelI37fast_hadamard_transform_kernel_traitsILi16ELi7EfEEv18HadamardParamsBase,"axG",@progbits,_Z30fast_hadamard_transform_kernelI37fast_hadamard_transform_kernel_traitsILi16ELi7EfEEv18HadamardParamsBase,comdat
.Lfunc_end4:
	.size	_Z30fast_hadamard_transform_kernelI37fast_hadamard_transform_kernel_traitsILi16ELi7EfEEv18HadamardParamsBase, .Lfunc_end4-_Z30fast_hadamard_transform_kernelI37fast_hadamard_transform_kernel_traitsILi16ELi7EfEEv18HadamardParamsBase
                                        ; -- End function
	.section	.AMDGPU.csdata,"",@progbits
; Kernel info:
; codeLenInByte = 1356
; NumSgprs: 18
; NumVgprs: 23
; ScratchSize: 0
; MemoryBound: 0
; FloatMode: 240
; IeeeMode: 1
; LDSByteSize: 0 bytes/workgroup (compile time only)
; SGPRBlocks: 2
; VGPRBlocks: 2
; NumSGPRsForWavesPerEU: 18
; NumVGPRsForWavesPerEU: 23
; Occupancy: 16
; WaveLimiterHint : 0
; COMPUTE_PGM_RSRC2:SCRATCH_EN: 0
; COMPUTE_PGM_RSRC2:USER_SGPR: 15
; COMPUTE_PGM_RSRC2:TRAP_HANDLER: 0
; COMPUTE_PGM_RSRC2:TGID_X_EN: 1
; COMPUTE_PGM_RSRC2:TGID_Y_EN: 0
; COMPUTE_PGM_RSRC2:TGID_Z_EN: 0
; COMPUTE_PGM_RSRC2:TIDIG_COMP_CNT: 0
	.section	.text._Z30fast_hadamard_transform_kernelI37fast_hadamard_transform_kernel_traitsILi32ELi8EfEEv18HadamardParamsBase,"axG",@progbits,_Z30fast_hadamard_transform_kernelI37fast_hadamard_transform_kernel_traitsILi32ELi8EfEEv18HadamardParamsBase,comdat
	.protected	_Z30fast_hadamard_transform_kernelI37fast_hadamard_transform_kernel_traitsILi32ELi8EfEEv18HadamardParamsBase ; -- Begin function _Z30fast_hadamard_transform_kernelI37fast_hadamard_transform_kernel_traitsILi32ELi8EfEEv18HadamardParamsBase
	.globl	_Z30fast_hadamard_transform_kernelI37fast_hadamard_transform_kernel_traitsILi32ELi8EfEEv18HadamardParamsBase
	.p2align	8
	.type	_Z30fast_hadamard_transform_kernelI37fast_hadamard_transform_kernel_traitsILi32ELi8EfEEv18HadamardParamsBase,@function
_Z30fast_hadamard_transform_kernelI37fast_hadamard_transform_kernel_traitsILi32ELi8EfEEv18HadamardParamsBase: ; @_Z30fast_hadamard_transform_kernelI37fast_hadamard_transform_kernel_traitsILi32ELi8EfEEv18HadamardParamsBase
; %bb.0:
	s_clause 0x3
	s_load_b128 s[8:11], s[0:1], 0x10
	s_load_b32 s2, s[0:1], 0x4
	s_load_b128 s[4:7], s[0:1], 0x28
	s_load_b32 s3, s[0:1], 0x44
	s_ashr_i32 s12, s15, 31
	v_dual_mov_b32 v5, 0 :: v_dual_lshlrev_b32 v2, 2, v0
	v_dual_mov_b32 v1, 0 :: v_dual_mov_b32 v6, 0
	v_dual_mov_b32 v7, 0 :: v_dual_mov_b32 v8, 0
	v_lshlrev_b32_e32 v9, 4, v0
	s_waitcnt lgkmcnt(0)
	s_mul_hi_u32 s13, s8, s15
	s_mul_i32 s14, s8, s12
	s_mul_i32 s9, s9, s15
	s_add_i32 s13, s13, s14
	s_mul_i32 s8, s8, s15
	s_add_i32 s9, s13, s9
	v_cmp_gt_u32_e32 vcc_lo, s2, v2
	s_lshl_b64 s[8:9], s[8:9], 2
	s_delay_alu instid0(SALU_CYCLE_1)
	s_add_u32 s4, s4, s8
	s_addc_u32 s5, s5, s9
	s_and_saveexec_b32 s8, vcc_lo
	s_cbranch_execz .LBB5_2
; %bb.1:
	global_load_b128 v[5:8], v9, s[4:5]
.LBB5_2:
	s_or_b32 exec_lo, exec_lo, s8
	s_and_b32 s3, 0xffff, s3
	s_delay_alu instid0(SALU_CYCLE_1) | instskip(NEXT) | instid1(VALU_DEP_1)
	v_dual_mov_b32 v3, 0 :: v_dual_add_nc_u32 v4, s3, v0
	v_dual_mov_b32 v2, 0 :: v_dual_lshlrev_b32 v11, 2, v4
	v_lshlrev_b32_e32 v10, 4, v4
	v_mov_b32_e32 v4, 0
	s_delay_alu instid0(VALU_DEP_3) | instskip(NEXT) | instid1(VALU_DEP_1)
	v_cmp_gt_u32_e64 s2, s2, v11
	s_and_saveexec_b32 s3, s2
	s_cbranch_execz .LBB5_4
; %bb.3:
	global_load_b128 v[1:4], v10, s[4:5]
.LBB5_4:
	s_or_b32 exec_lo, exec_lo, s3
	v_mbcnt_lo_u32_b32 v11, -1, 0
	s_waitcnt vmcnt(0)
	v_add_f32_e32 v12, v5, v6
	v_sub_f32_e32 v5, v5, v6
	v_add_f32_e32 v6, v1, v2
	v_sub_f32_e32 v1, v1, v2
	v_xor_b32_e32 v13, 1, v11
	v_add_f32_e32 v2, v7, v8
	v_sub_f32_e32 v7, v7, v8
	v_add_f32_e32 v8, v3, v4
	v_sub_f32_e32 v3, v3, v4
	v_cmp_gt_i32_e64 s3, 32, v13
	s_delay_alu instid0(VALU_DEP_4) | instskip(NEXT) | instid1(VALU_DEP_4)
	v_add_f32_e32 v14, v5, v7
	v_add_f32_e32 v18, v6, v8
	v_sub_f32_e32 v6, v6, v8
	s_delay_alu instid0(VALU_DEP_4) | instskip(SKIP_3) | instid1(VALU_DEP_4)
	v_cndmask_b32_e64 v13, v11, v13, s3
	v_add_f32_e32 v4, v12, v2
	v_dual_sub_f32 v2, v12, v2 :: v_dual_sub_f32 v5, v5, v7
	v_and_b32_e32 v7, 1, v0
	v_lshlrev_b32_e32 v13, 2, v13
	s_delay_alu instid0(VALU_DEP_2)
	v_cmp_eq_u32_e64 s3, 0, v7
	v_add_f32_e32 v7, v1, v3
	ds_bpermute_b32 v12, v13, v4
	ds_bpermute_b32 v16, v13, v2
	;; [unrolled: 1-line block ×5, first 2 shown]
	v_sub_f32_e32 v1, v1, v3
	v_xor_b32_e32 v3, 2, v11
	v_cndmask_b32_e64 v8, -v14, v14, s3
	ds_bpermute_b32 v14, v13, v18
	v_cndmask_b32_e64 v4, -v4, v4, s3
	v_cndmask_b32_e64 v7, -v7, v7, s3
	v_cmp_gt_i32_e64 s4, 32, v3
	ds_bpermute_b32 v20, v13, v6
	v_cndmask_b32_e64 v2, -v2, v2, s3
	v_cndmask_b32_e64 v5, -v5, v5, s3
	ds_bpermute_b32 v13, v13, v1
	v_cndmask_b32_e64 v3, v11, v3, s4
	v_cndmask_b32_e64 v6, -v6, v6, s3
	v_cndmask_b32_e64 v1, -v1, v1, s3
	s_waitcnt lgkmcnt(7)
	v_add_f32_e32 v4, v4, v12
	v_cndmask_b32_e64 v12, -v18, v18, s3
	s_waitcnt lgkmcnt(5)
	v_dual_add_f32 v5, v5, v17 :: v_dual_and_b32 v18, 2, v0
	s_waitcnt lgkmcnt(3)
	v_add_f32_e32 v7, v7, v19
	v_xor_b32_e32 v19, 4, v11
	v_dual_add_f32 v2, v2, v16 :: v_dual_lshlrev_b32 v3, 2, v3
	v_add_f32_e32 v8, v8, v15
	v_cmp_eq_u32_e64 s3, 0, v18
	s_delay_alu instid0(VALU_DEP_4)
	v_cmp_gt_i32_e64 s4, 32, v19
	ds_bpermute_b32 v15, v3, v4
	ds_bpermute_b32 v17, v3, v2
	v_cndmask_b32_e64 v4, -v4, v4, s3
	s_waitcnt lgkmcnt(2)
	v_add_f32_e32 v1, v1, v13
	v_cndmask_b32_e64 v19, v11, v19, s4
	v_add_f32_e32 v12, v12, v14
	ds_bpermute_b32 v14, v3, v5
	v_cndmask_b32_e64 v5, -v5, v5, s3
	v_add_f32_e32 v6, v6, v20
	ds_bpermute_b32 v20, v3, v7
	ds_bpermute_b32 v16, v3, v8
	v_lshlrev_b32_e32 v13, 2, v19
	ds_bpermute_b32 v18, v3, v12
	v_cndmask_b32_e64 v7, -v7, v7, s3
	v_cndmask_b32_e64 v8, -v8, v8, s3
	;; [unrolled: 1-line block ×4, first 2 shown]
	s_waitcnt lgkmcnt(3)
	v_dual_add_f32 v4, v4, v15 :: v_dual_add_f32 v5, v5, v14
	ds_bpermute_b32 v21, v3, v6
	ds_bpermute_b32 v3, v3, v1
	s_waitcnt lgkmcnt(4)
	v_add_f32_e32 v7, v7, v20
	ds_bpermute_b32 v15, v13, v4
	v_cndmask_b32_e64 v1, -v1, v1, s3
	s_waitcnt lgkmcnt(4)
	v_add_f32_e32 v8, v8, v16
	s_waitcnt lgkmcnt(3)
	v_add_f32_e32 v12, v12, v18
	ds_bpermute_b32 v18, v13, v5
	v_and_b32_e32 v14, 4, v0
	v_cndmask_b32_e64 v6, -v6, v6, s3
	ds_bpermute_b32 v20, v13, v7
	v_cmp_eq_u32_e64 s3, 0, v14
	v_xor_b32_e32 v14, 8, v11
	s_delay_alu instid0(VALU_DEP_2) | instskip(SKIP_1) | instid1(VALU_DEP_3)
	v_cndmask_b32_e64 v4, -v4, v4, s3
	v_add_f32_e32 v2, v2, v17
	v_cmp_gt_i32_e64 s4, 32, v14
	s_waitcnt lgkmcnt(3)
	v_add_f32_e32 v1, v1, v3
	ds_bpermute_b32 v16, v13, v8
	s_waitcnt lgkmcnt(3)
	v_add_f32_e32 v3, v4, v15
	ds_bpermute_b32 v17, v13, v2
	v_cndmask_b32_e64 v8, -v8, v8, s3
	v_cndmask_b32_e64 v14, v11, v14, s4
	v_cndmask_b32_e64 v7, -v7, v7, s3
	v_add_f32_e32 v6, v6, v21
	v_xor_b32_e32 v21, 16, v11
	v_cndmask_b32_e64 v2, -v2, v2, s3
	v_cndmask_b32_e64 v5, -v5, v5, s3
	s_waitcnt lgkmcnt(2)
	v_add_f32_e32 v7, v7, v20
	v_cmp_gt_i32_e64 s4, 32, v21
	s_delay_alu instid0(VALU_DEP_3) | instskip(NEXT) | instid1(VALU_DEP_2)
	v_add_f32_e32 v5, v5, v18
	v_cndmask_b32_e64 v11, v11, v21, s4
	s_load_b32 s4, s[0:1], 0x20
	s_mul_i32 s0, s10, s12
	s_waitcnt lgkmcnt(0)
	v_add_f32_e32 v4, v8, v16
	v_lshlrev_b32_e32 v8, 2, v14
	v_dual_add_f32 v2, v2, v17 :: v_dual_lshlrev_b32 v11, 2, v11
	v_and_b32_e32 v17, 8, v0
	ds_bpermute_b32 v19, v13, v12
	ds_bpermute_b32 v15, v8, v3
	;; [unrolled: 1-line block ×3, first 2 shown]
	v_cndmask_b32_e64 v12, -v12, v12, s3
	ds_bpermute_b32 v13, v13, v1
	v_cndmask_b32_e64 v6, -v6, v6, s3
	v_cndmask_b32_e64 v1, -v1, v1, s3
	v_cmp_eq_u32_e64 s3, 0, v17
	s_mul_hi_u32 s1, s10, s15
	s_delay_alu instid0(SALU_CYCLE_1) | instskip(SKIP_1) | instid1(VALU_DEP_1)
	s_add_i32 s0, s1, s0
	s_mul_i32 s1, s11, s15
	v_cndmask_b32_e64 v3, -v3, v3, s3
	s_add_i32 s1, s0, s1
	s_mul_i32 s0, s10, s15
	s_delay_alu instid0(SALU_CYCLE_1) | instskip(NEXT) | instid1(SALU_CYCLE_1)
	s_lshl_b64 s[0:1], s[0:1], 2
	s_add_u32 s0, s6, s0
	s_addc_u32 s1, s7, s1
	s_waitcnt lgkmcnt(2)
	v_add_f32_e32 v3, v3, v15
	ds_bpermute_b32 v17, v8, v5
	ds_bpermute_b32 v20, v8, v7
	v_cndmask_b32_e64 v5, -v5, v5, s3
	s_waitcnt lgkmcnt(2)
	v_dual_add_f32 v12, v12, v19 :: v_dual_add_f32 v1, v1, v13
	v_cndmask_b32_e64 v7, -v7, v7, s3
	v_add_f32_e32 v6, v6, v14
	ds_bpermute_b32 v16, v8, v4
	ds_bpermute_b32 v18, v8, v2
	v_cndmask_b32_e64 v4, -v4, v4, s3
	v_cndmask_b32_e64 v2, -v2, v2, s3
	ds_bpermute_b32 v14, v11, v3
	s_waitcnt lgkmcnt(4)
	v_add_f32_e32 v5, v5, v17
	s_waitcnt lgkmcnt(3)
	v_add_f32_e32 v7, v7, v20
	ds_bpermute_b32 v19, v8, v12
	ds_bpermute_b32 v13, v8, v6
	;; [unrolled: 1-line block ×3, first 2 shown]
	v_cndmask_b32_e64 v12, -v12, v12, s3
	ds_bpermute_b32 v17, v11, v5
	v_cndmask_b32_e64 v1, -v1, v1, s3
	v_cndmask_b32_e64 v6, -v6, v6, s3
	s_waitcnt lgkmcnt(6)
	v_add_f32_e32 v4, v4, v16
	ds_bpermute_b32 v15, v11, v4
	s_waitcnt lgkmcnt(4)
	v_add_f32_e32 v12, v12, v19
	ds_bpermute_b32 v19, v11, v7
	v_and_b32_e32 v0, 16, v0
	s_waitcnt lgkmcnt(3)
	v_add_f32_e32 v8, v1, v8
	s_delay_alu instid0(VALU_DEP_2) | instskip(NEXT) | instid1(VALU_DEP_1)
	v_cmp_eq_u32_e64 s3, 0, v0
	v_cndmask_b32_e64 v0, -v3, v3, s3
	v_cndmask_b32_e64 v3, -v5, v5, s3
	v_add_f32_e32 v2, v2, v18
	v_cndmask_b32_e64 v5, -v7, v7, s3
	v_cndmask_b32_e64 v7, -v8, v8, s3
	v_add_f32_e32 v6, v6, v13
	ds_bpermute_b32 v18, v11, v12
	s_waitcnt lgkmcnt(3)
	v_add_f32_e32 v3, v3, v17
	ds_bpermute_b32 v16, v11, v2
	v_cndmask_b32_e64 v1, -v4, v4, s3
	ds_bpermute_b32 v13, v11, v6
	ds_bpermute_b32 v11, v11, v8
	v_cndmask_b32_e64 v2, -v2, v2, s3
	v_cndmask_b32_e64 v4, -v12, v12, s3
	s_waitcnt lgkmcnt(5)
	v_dual_add_f32 v0, v0, v14 :: v_dual_add_f32 v1, v1, v15
	s_waitcnt lgkmcnt(3)
	s_delay_alu instid0(VALU_DEP_2) | instskip(SKIP_3) | instid1(VALU_DEP_1)
	v_dual_add_f32 v5, v5, v19 :: v_dual_add_f32 v4, v4, v18
	s_waitcnt lgkmcnt(0)
	v_dual_add_f32 v2, v2, v16 :: v_dual_add_f32 v7, v7, v11
	v_cndmask_b32_e64 v6, -v6, v6, s3
	v_add_f32_e32 v6, v6, v13
	s_and_saveexec_b32 s3, vcc_lo
	s_cbranch_execnz .LBB5_7
; %bb.5:
	s_or_b32 exec_lo, exec_lo, s3
	s_and_saveexec_b32 s3, s2
	s_cbranch_execnz .LBB5_8
.LBB5_6:
	s_nop 0
	s_sendmsg sendmsg(MSG_DEALLOC_VGPRS)
	s_endpgm
.LBB5_7:
	s_delay_alu instid0(VALU_DEP_1) | instskip(SKIP_1) | instid1(VALU_DEP_2)
	v_dual_add_f32 v8, v3, v7 :: v_dual_add_f32 v11, v2, v6
	v_dual_add_f32 v12, v1, v5 :: v_dual_add_f32 v15, v0, v4
	v_dual_mul_f32 v14, s4, v8 :: v_dual_mul_f32 v13, s4, v11
	s_delay_alu instid0(VALU_DEP_2)
	v_dual_mul_f32 v12, s4, v12 :: v_dual_mul_f32 v11, s4, v15
	global_store_b128 v9, v[11:14], s[0:1]
	s_or_b32 exec_lo, exec_lo, s3
	s_and_saveexec_b32 s3, s2
	s_cbranch_execz .LBB5_6
.LBB5_8:
	v_dual_sub_f32 v0, v0, v4 :: v_dual_sub_f32 v1, v1, v5
	v_dual_sub_f32 v2, v2, v6 :: v_dual_sub_f32 v3, v3, v7
	s_delay_alu instid0(VALU_DEP_2) | instskip(NEXT) | instid1(VALU_DEP_2)
	v_dual_mul_f32 v0, s4, v0 :: v_dual_mul_f32 v1, s4, v1
	v_dual_mul_f32 v2, s4, v2 :: v_dual_mul_f32 v3, s4, v3
	global_store_b128 v10, v[0:3], s[0:1]
	s_nop 0
	s_sendmsg sendmsg(MSG_DEALLOC_VGPRS)
	s_endpgm
	.section	.rodata,"a",@progbits
	.p2align	6, 0x0
	.amdhsa_kernel _Z30fast_hadamard_transform_kernelI37fast_hadamard_transform_kernel_traitsILi32ELi8EfEEv18HadamardParamsBase
		.amdhsa_group_segment_fixed_size 0
		.amdhsa_private_segment_fixed_size 0
		.amdhsa_kernarg_size 312
		.amdhsa_user_sgpr_count 15
		.amdhsa_user_sgpr_dispatch_ptr 0
		.amdhsa_user_sgpr_queue_ptr 0
		.amdhsa_user_sgpr_kernarg_segment_ptr 1
		.amdhsa_user_sgpr_dispatch_id 0
		.amdhsa_user_sgpr_private_segment_size 0
		.amdhsa_wavefront_size32 1
		.amdhsa_uses_dynamic_stack 0
		.amdhsa_enable_private_segment 0
		.amdhsa_system_sgpr_workgroup_id_x 1
		.amdhsa_system_sgpr_workgroup_id_y 0
		.amdhsa_system_sgpr_workgroup_id_z 0
		.amdhsa_system_sgpr_workgroup_info 0
		.amdhsa_system_vgpr_workitem_id 0
		.amdhsa_next_free_vgpr 22
		.amdhsa_next_free_sgpr 16
		.amdhsa_reserve_vcc 1
		.amdhsa_float_round_mode_32 0
		.amdhsa_float_round_mode_16_64 0
		.amdhsa_float_denorm_mode_32 3
		.amdhsa_float_denorm_mode_16_64 3
		.amdhsa_dx10_clamp 1
		.amdhsa_ieee_mode 1
		.amdhsa_fp16_overflow 0
		.amdhsa_workgroup_processor_mode 1
		.amdhsa_memory_ordered 1
		.amdhsa_forward_progress 0
		.amdhsa_shared_vgpr_count 0
		.amdhsa_exception_fp_ieee_invalid_op 0
		.amdhsa_exception_fp_denorm_src 0
		.amdhsa_exception_fp_ieee_div_zero 0
		.amdhsa_exception_fp_ieee_overflow 0
		.amdhsa_exception_fp_ieee_underflow 0
		.amdhsa_exception_fp_ieee_inexact 0
		.amdhsa_exception_int_div_zero 0
	.end_amdhsa_kernel
	.section	.text._Z30fast_hadamard_transform_kernelI37fast_hadamard_transform_kernel_traitsILi32ELi8EfEEv18HadamardParamsBase,"axG",@progbits,_Z30fast_hadamard_transform_kernelI37fast_hadamard_transform_kernel_traitsILi32ELi8EfEEv18HadamardParamsBase,comdat
.Lfunc_end5:
	.size	_Z30fast_hadamard_transform_kernelI37fast_hadamard_transform_kernel_traitsILi32ELi8EfEEv18HadamardParamsBase, .Lfunc_end5-_Z30fast_hadamard_transform_kernelI37fast_hadamard_transform_kernel_traitsILi32ELi8EfEEv18HadamardParamsBase
                                        ; -- End function
	.section	.AMDGPU.csdata,"",@progbits
; Kernel info:
; codeLenInByte = 1584
; NumSgprs: 18
; NumVgprs: 22
; ScratchSize: 0
; MemoryBound: 0
; FloatMode: 240
; IeeeMode: 1
; LDSByteSize: 0 bytes/workgroup (compile time only)
; SGPRBlocks: 2
; VGPRBlocks: 2
; NumSGPRsForWavesPerEU: 18
; NumVGPRsForWavesPerEU: 22
; Occupancy: 16
; WaveLimiterHint : 0
; COMPUTE_PGM_RSRC2:SCRATCH_EN: 0
; COMPUTE_PGM_RSRC2:USER_SGPR: 15
; COMPUTE_PGM_RSRC2:TRAP_HANDLER: 0
; COMPUTE_PGM_RSRC2:TGID_X_EN: 1
; COMPUTE_PGM_RSRC2:TGID_Y_EN: 0
; COMPUTE_PGM_RSRC2:TGID_Z_EN: 0
; COMPUTE_PGM_RSRC2:TIDIG_COMP_CNT: 0
	.section	.text._Z30fast_hadamard_transform_kernelI37fast_hadamard_transform_kernel_traitsILi32ELi9EfEEv18HadamardParamsBase,"axG",@progbits,_Z30fast_hadamard_transform_kernelI37fast_hadamard_transform_kernel_traitsILi32ELi9EfEEv18HadamardParamsBase,comdat
	.protected	_Z30fast_hadamard_transform_kernelI37fast_hadamard_transform_kernel_traitsILi32ELi9EfEEv18HadamardParamsBase ; -- Begin function _Z30fast_hadamard_transform_kernelI37fast_hadamard_transform_kernel_traitsILi32ELi9EfEEv18HadamardParamsBase
	.globl	_Z30fast_hadamard_transform_kernelI37fast_hadamard_transform_kernel_traitsILi32ELi9EfEEv18HadamardParamsBase
	.p2align	8
	.type	_Z30fast_hadamard_transform_kernelI37fast_hadamard_transform_kernel_traitsILi32ELi9EfEEv18HadamardParamsBase,@function
_Z30fast_hadamard_transform_kernelI37fast_hadamard_transform_kernel_traitsILi32ELi9EfEEv18HadamardParamsBase: ; @_Z30fast_hadamard_transform_kernelI37fast_hadamard_transform_kernel_traitsILi32ELi9EfEEv18HadamardParamsBase
; %bb.0:
	s_clause 0x3
	s_load_b128 s[8:11], s[0:1], 0x10
	s_load_b32 s13, s[0:1], 0x4
	s_load_b128 s[4:7], s[0:1], 0x28
	s_load_b32 s2, s[0:1], 0x44
	s_ashr_i32 s12, s15, 31
	v_dual_mov_b32 v5, 0 :: v_dual_lshlrev_b32 v2, 2, v0
	v_dual_mov_b32 v1, 0 :: v_dual_mov_b32 v6, 0
	v_dual_mov_b32 v7, 0 :: v_dual_mov_b32 v8, 0
	v_lshlrev_b32_e32 v17, 4, v0
	s_waitcnt lgkmcnt(0)
	s_mul_hi_u32 s3, s8, s15
	s_mul_i32 s14, s8, s12
	s_mul_i32 s9, s9, s15
	s_add_i32 s3, s3, s14
	s_mul_i32 s8, s8, s15
	s_add_i32 s9, s3, s9
	v_cmp_gt_u32_e32 vcc_lo, s13, v2
	s_lshl_b64 s[8:9], s[8:9], 2
	s_delay_alu instid0(SALU_CYCLE_1)
	s_add_u32 s8, s4, s8
	s_addc_u32 s9, s5, s9
	s_and_saveexec_b32 s3, vcc_lo
	s_cbranch_execz .LBB6_2
; %bb.1:
	global_load_b128 v[5:8], v17, s[8:9]
.LBB6_2:
	s_or_b32 exec_lo, exec_lo, s3
	s_and_b32 s4, 0xffff, s2
	s_delay_alu instid0(SALU_CYCLE_1) | instskip(NEXT) | instid1(VALU_DEP_1)
	v_dual_mov_b32 v2, 0 :: v_dual_add_nc_u32 v9, s4, v0
	v_dual_mov_b32 v3, 0 :: v_dual_lshlrev_b32 v4, 2, v9
	v_lshlrev_b32_e32 v18, 4, v9
	s_delay_alu instid0(VALU_DEP_2) | instskip(SKIP_1) | instid1(VALU_DEP_2)
	v_cmp_gt_u32_e64 s2, s13, v4
	v_mov_b32_e32 v4, 0
	s_and_saveexec_b32 s3, s2
	s_cbranch_execz .LBB6_4
; %bb.3:
	global_load_b128 v[1:4], v18, s[8:9]
.LBB6_4:
	s_or_b32 exec_lo, exec_lo, s3
	v_dual_mov_b32 v9, 0 :: v_dual_add_nc_u32 v10, s4, v9
	v_dual_mov_b32 v13, 0 :: v_dual_mov_b32 v16, 0
	v_mov_b32_e32 v15, 0
	s_delay_alu instid0(VALU_DEP_3) | instskip(SKIP_1) | instid1(VALU_DEP_2)
	v_dual_mov_b32 v14, 0 :: v_dual_lshlrev_b32 v11, 2, v10
	v_lshlrev_b32_e32 v19, 4, v10
	v_cmp_gt_u32_e64 s3, s13, v11
	s_delay_alu instid0(VALU_DEP_1)
	s_and_saveexec_b32 s5, s3
	s_cbranch_execz .LBB6_6
; %bb.5:
	global_load_b128 v[13:16], v19, s[8:9]
.LBB6_6:
	s_or_b32 exec_lo, exec_lo, s5
	v_dual_mov_b32 v11, 0 :: v_dual_add_nc_u32 v12, s4, v10
	s_delay_alu instid0(VALU_DEP_1) | instskip(SKIP_2) | instid1(VALU_DEP_3)
	v_dual_mov_b32 v10, 0 :: v_dual_lshlrev_b32 v21, 2, v12
	v_lshlrev_b32_e32 v20, 4, v12
	v_mov_b32_e32 v12, 0
	v_cmp_gt_u32_e64 s4, s13, v21
	s_delay_alu instid0(VALU_DEP_1)
	s_and_saveexec_b32 s5, s4
	s_cbranch_execz .LBB6_8
; %bb.7:
	global_load_b128 v[9:12], v20, s[8:9]
.LBB6_8:
	s_or_b32 exec_lo, exec_lo, s5
	v_mbcnt_lo_u32_b32 v22, -1, 0
	s_load_b32 s5, s[0:1], 0x20
	s_waitcnt vmcnt(0)
	v_add_f32_e32 v21, v5, v6
	v_sub_f32_e32 v5, v5, v6
	v_add_f32_e32 v6, v1, v2
	v_xor_b32_e32 v23, 1, v22
	v_sub_f32_e32 v1, v1, v2
	v_add_f32_e32 v2, v13, v14
	v_sub_f32_e32 v13, v13, v14
	v_add_f32_e32 v14, v9, v10
	v_cmp_gt_i32_e64 s0, 32, v23
	v_dual_sub_f32 v9, v9, v10 :: v_dual_add_f32 v10, v7, v8
	v_sub_f32_e32 v7, v7, v8
	v_add_f32_e32 v8, v3, v4
	v_sub_f32_e32 v3, v3, v4
	v_add_f32_e32 v4, v15, v16
	v_cndmask_b32_e64 v23, v22, v23, s0
	v_sub_f32_e32 v15, v15, v16
	v_add_f32_e32 v16, v11, v12
	v_dual_sub_f32 v11, v11, v12 :: v_dual_add_f32 v12, v21, v10
	v_dual_sub_f32 v10, v21, v10 :: v_dual_add_f32 v21, v6, v8
	v_sub_f32_e32 v6, v6, v8
	v_dual_add_f32 v8, v2, v4 :: v_dual_lshlrev_b32 v23, 2, v23
	v_add_f32_e32 v24, v5, v7
	v_dual_sub_f32 v2, v2, v4 :: v_dual_sub_f32 v5, v5, v7
	v_dual_add_f32 v4, v14, v16 :: v_dual_add_f32 v27, v1, v3
	v_dual_sub_f32 v14, v14, v16 :: v_dual_sub_f32 v1, v1, v3
	ds_bpermute_b32 v16, v23, v12
	ds_bpermute_b32 v26, v23, v10
	v_and_b32_e32 v7, 1, v0
	ds_bpermute_b32 v25, v23, v24
	ds_bpermute_b32 v29, v23, v6
	;; [unrolled: 1-line block ×4, first 2 shown]
	v_cmp_eq_u32_e64 s0, 0, v7
	s_delay_alu instid0(VALU_DEP_1)
	v_cndmask_b32_e64 v7, -v12, v12, s0
	ds_bpermute_b32 v12, v23, v5
	v_cndmask_b32_e64 v24, -v24, v24, s0
	v_cndmask_b32_e64 v10, -v10, v10, s0
	v_add_f32_e32 v3, v13, v15
	v_cndmask_b32_e64 v6, -v6, v6, s0
	v_sub_f32_e32 v13, v13, v15
	ds_bpermute_b32 v15, v23, v21
	s_waitcnt lgkmcnt(0)
	v_add_f32_e32 v7, v7, v16
	v_cndmask_b32_e64 v16, -v21, v21, s0
	ds_bpermute_b32 v21, v23, v8
	v_add_f32_e32 v10, v10, v26
	v_cndmask_b32_e64 v26, -v27, v27, s0
	v_xor_b32_e32 v27, 2, v22
	v_cndmask_b32_e64 v8, -v8, v8, s0
	v_add_f32_e32 v31, v9, v11
	v_sub_f32_e32 v9, v9, v11
	v_add_f32_e32 v11, v24, v25
	ds_bpermute_b32 v24, v23, v3
	v_cmp_gt_i32_e64 s1, 32, v27
	v_cndmask_b32_e64 v5, -v5, v5, s0
	v_cndmask_b32_e64 v1, -v1, v1, s0
	v_add_f32_e32 v6, v6, v29
	v_cndmask_b32_e64 v3, -v3, v3, s0
	v_cndmask_b32_e64 v27, v22, v27, s1
	v_add_f32_e32 v5, v5, v12
	ds_bpermute_b32 v25, v23, v2
	v_add_f32_e32 v12, v16, v15
	ds_bpermute_b32 v16, v23, v13
	v_cndmask_b32_e64 v13, -v13, v13, s0
	s_waitcnt lgkmcnt(3)
	v_dual_add_f32 v8, v8, v21 :: v_dual_lshlrev_b32 v21, 2, v27
	v_cndmask_b32_e64 v2, -v2, v2, s0
	s_waitcnt lgkmcnt(2)
	v_add_f32_e32 v3, v3, v24
	ds_bpermute_b32 v24, v23, v14
	v_cndmask_b32_e64 v14, -v14, v14, s0
	v_add_f32_e32 v1, v1, v30
	ds_bpermute_b32 v30, v21, v12
	v_add_f32_e32 v15, v26, v28
	ds_bpermute_b32 v26, v23, v4
	v_cndmask_b32_e64 v4, -v4, v4, s0
	ds_bpermute_b32 v28, v23, v31
	s_waitcnt lgkmcnt(4)
	v_dual_add_f32 v2, v2, v25 :: v_dual_add_f32 v13, v13, v16
	ds_bpermute_b32 v16, v21, v10
	v_cndmask_b32_e64 v25, -v31, v31, s0
	ds_bpermute_b32 v23, v23, v9
	v_cndmask_b32_e64 v9, -v9, v9, s0
	s_waitcnt lgkmcnt(5)
	v_add_f32_e32 v14, v14, v24
	s_waitcnt lgkmcnt(3)
	v_add_f32_e32 v4, v4, v26
	v_and_b32_e32 v26, 2, v0
	s_delay_alu instid0(VALU_DEP_1) | instskip(NEXT) | instid1(VALU_DEP_1)
	v_cmp_eq_u32_e64 s0, 0, v26
	v_cndmask_b32_e64 v10, -v10, v10, s0
	v_cndmask_b32_e64 v12, -v12, v12, s0
	s_waitcnt lgkmcnt(1)
	s_delay_alu instid0(VALU_DEP_2)
	v_add_f32_e32 v10, v10, v16
	ds_bpermute_b32 v27, v21, v7
	ds_bpermute_b32 v31, v21, v6
	;; [unrolled: 1-line block ×3, first 2 shown]
	v_cndmask_b32_e64 v2, -v2, v2, s0
	s_waitcnt lgkmcnt(3)
	v_add_f32_e32 v9, v9, v23
	ds_bpermute_b32 v23, v21, v8
	v_cndmask_b32_e64 v7, -v7, v7, s0
	v_cndmask_b32_e64 v6, -v6, v6, s0
	;; [unrolled: 1-line block ×3, first 2 shown]
	ds_bpermute_b32 v29, v21, v11
	ds_bpermute_b32 v32, v21, v1
	v_cndmask_b32_e64 v11, -v11, v11, s0
	v_cndmask_b32_e64 v1, -v1, v1, s0
	v_add_f32_e32 v12, v12, v30
	ds_bpermute_b32 v26, v21, v15
	v_cndmask_b32_e64 v15, -v15, v15, s0
	s_waitcnt lgkmcnt(6)
	v_add_f32_e32 v7, v7, v27
	v_xor_b32_e32 v27, 4, v22
	s_waitcnt lgkmcnt(5)
	v_add_f32_e32 v6, v6, v31
	ds_bpermute_b32 v16, v21, v3
	v_cndmask_b32_e64 v3, -v3, v3, s0
	s_waitcnt lgkmcnt(4)
	v_add_f32_e32 v8, v8, v23
	v_cmp_gt_i32_e64 s1, 32, v27
	v_add_f32_e32 v2, v2, v24
	s_waitcnt lgkmcnt(2)
	v_add_f32_e32 v1, v1, v32
	s_delay_alu instid0(VALU_DEP_3) | instskip(SKIP_4) | instid1(VALU_DEP_2)
	v_cndmask_b32_e64 v23, v22, v27, s1
	v_add_f32_e32 v25, v25, v28
	ds_bpermute_b32 v28, v21, v5
	v_and_b32_e32 v27, 4, v0
	v_cndmask_b32_e64 v5, -v5, v5, s0
	v_cmp_eq_u32_e64 s1, 0, v27
	s_waitcnt lgkmcnt(1)
	v_dual_add_f32 v3, v3, v16 :: v_dual_lshlrev_b32 v16, 2, v23
	v_cndmask_b32_e64 v23, -v25, v25, s0
	ds_bpermute_b32 v32, v16, v10
	v_cndmask_b32_e64 v10, -v10, v10, s1
	v_add_f32_e32 v11, v11, v29
	ds_bpermute_b32 v29, v21, v25
	ds_bpermute_b32 v25, v21, v14
	v_cndmask_b32_e64 v14, -v14, v14, s0
	s_waitcnt lgkmcnt(3)
	v_add_f32_e32 v5, v5, v28
	ds_bpermute_b32 v28, v21, v4
	v_cndmask_b32_e64 v4, -v4, v4, s0
	s_waitcnt lgkmcnt(3)
	v_add_f32_e32 v10, v10, v32
	;; [unrolled: 4-line block ×4, first 2 shown]
	ds_bpermute_b32 v28, v16, v6
	v_cndmask_b32_e64 v6, -v6, v6, s1
	v_add_f32_e32 v15, v15, v26
	ds_bpermute_b32 v26, v21, v13
	ds_bpermute_b32 v21, v21, v9
	v_cndmask_b32_e64 v9, -v9, v9, s0
	v_cndmask_b32_e64 v13, -v13, v13, s0
	ds_bpermute_b32 v30, v16, v7
	v_cndmask_b32_e64 v7, -v7, v7, s1
	s_waitcnt lgkmcnt(4)
	v_add_f32_e32 v5, v5, v24
	v_xor_b32_e32 v24, 8, v22
	s_waitcnt lgkmcnt(3)
	v_add_f32_e32 v6, v6, v28
	ds_bpermute_b32 v28, v16, v14
	v_cndmask_b32_e64 v14, -v14, v14, s1
	s_waitcnt lgkmcnt(3)
	v_add_f32_e32 v13, v13, v26
	s_waitcnt lgkmcnt(2)
	v_add_f32_e32 v9, v9, v21
	ds_bpermute_b32 v21, v16, v8
	ds_bpermute_b32 v26, v16, v12
	v_cmp_gt_i32_e64 s0, 32, v24
	v_cndmask_b32_e64 v8, -v8, v8, s1
	v_cndmask_b32_e64 v12, -v12, v12, s1
	ds_bpermute_b32 v27, v16, v15
	v_cndmask_b32_e64 v15, -v15, v15, s1
	v_cndmask_b32_e64 v24, v22, v24, s0
	s_waitcnt lgkmcnt(3)
	v_add_f32_e32 v14, v14, v28
	s_waitcnt lgkmcnt(2)
	s_delay_alu instid0(VALU_DEP_2)
	v_dual_add_f32 v8, v8, v21 :: v_dual_lshlrev_b32 v21, 2, v24
	v_and_b32_e32 v24, 8, v0
	s_waitcnt lgkmcnt(1)
	v_add_f32_e32 v12, v12, v26
	ds_bpermute_b32 v26, v16, v4
	v_cndmask_b32_e64 v4, -v4, v4, s1
	v_add_f32_e32 v23, v23, v29
	v_cmp_eq_u32_e64 s0, 0, v24
	ds_bpermute_b32 v32, v21, v12
	ds_bpermute_b32 v29, v16, v1
	;; [unrolled: 1-line block ×4, first 2 shown]
	v_cndmask_b32_e64 v12, -v12, v12, s0
	v_add_f32_e32 v7, v7, v30
	ds_bpermute_b32 v30, v16, v2
	v_cndmask_b32_e64 v2, -v2, v2, s1
	v_cndmask_b32_e64 v6, -v6, v6, s0
	s_waitcnt lgkmcnt(6)
	v_add_f32_e32 v15, v15, v27
	v_cndmask_b32_e64 v1, -v1, v1, s1
	v_cndmask_b32_e64 v3, -v3, v3, s1
	v_and_b32_e32 v0, 16, v0
	s_waitcnt lgkmcnt(5)
	v_add_f32_e32 v4, v4, v26
	ds_bpermute_b32 v27, v16, v23
	v_cndmask_b32_e64 v23, -v23, v23, s1
	s_waitcnt lgkmcnt(5)
	v_add_f32_e32 v12, v12, v32
	s_waitcnt lgkmcnt(2)
	v_add_f32_e32 v6, v6, v24
	;; [unrolled: 2-line block ×3, first 2 shown]
	ds_bpermute_b32 v30, v21, v10
	v_cndmask_b32_e64 v10, -v10, v10, s0
	v_add_f32_e32 v11, v11, v31
	ds_bpermute_b32 v31, v16, v13
	ds_bpermute_b32 v16, v16, v9
	;; [unrolled: 1-line block ×3, first 2 shown]
	v_cndmask_b32_e64 v9, -v9, v9, s1
	v_cndmask_b32_e64 v2, -v2, v2, s0
	v_add_f32_e32 v1, v1, v29
	v_cndmask_b32_e64 v13, -v13, v13, s1
	s_waitcnt lgkmcnt(3)
	v_dual_add_f32 v23, v23, v27 :: v_dual_add_f32 v10, v10, v30
	v_xor_b32_e32 v30, 16, v22
	s_waitcnt lgkmcnt(1)
	v_add_f32_e32 v9, v9, v16
	ds_bpermute_b32 v16, v21, v15
	s_waitcnt lgkmcnt(1)
	v_add_f32_e32 v28, v2, v28
	ds_bpermute_b32 v26, v21, v1
	v_cndmask_b32_e64 v15, -v15, v15, s0
	v_cndmask_b32_e64 v1, -v1, v1, s0
	v_add_f32_e32 v3, v3, v25
	v_cmp_gt_i32_e64 s1, 32, v30
	v_cndmask_b32_e64 v2, -v4, v4, s0
	s_waitcnt lgkmcnt(0)
	v_dual_add_f32 v15, v15, v16 :: v_dual_add_f32 v16, v1, v26
	ds_bpermute_b32 v26, v21, v14
	v_cndmask_b32_e64 v1, v22, v30, s1
	v_add_f32_e32 v13, v13, v31
	s_mul_hi_u32 s1, s10, s15
	s_delay_alu instid0(VALU_DEP_2)
	v_lshlrev_b32_e32 v22, 2, v1
	ds_bpermute_b32 v1, v21, v4
	v_cndmask_b32_e64 v4, -v14, v14, s0
	ds_bpermute_b32 v14, v22, v10
	s_waitcnt lgkmcnt(2)
	v_add_f32_e32 v26, v4, v26
	ds_bpermute_b32 v25, v21, v7
	ds_bpermute_b32 v27, v21, v8
	v_cndmask_b32_e64 v7, -v7, v7, s0
	ds_bpermute_b32 v29, v21, v11
	v_cndmask_b32_e64 v8, -v8, v8, s0
	;; [unrolled: 2-line block ×3, first 2 shown]
	ds_bpermute_b32 v32, v22, v26
	s_waitcnt lgkmcnt(4)
	v_add_f32_e32 v7, v7, v25
	ds_bpermute_b32 v25, v21, v3
	s_waitcnt lgkmcnt(4)
	v_add_f32_e32 v8, v8, v27
	ds_bpermute_b32 v31, v21, v5
	v_cndmask_b32_e64 v3, -v3, v3, s0
	v_cndmask_b32_e64 v5, -v5, v5, s0
	s_waitcnt lgkmcnt(4)
	v_add_f32_e32 v11, v11, v29
	ds_bpermute_b32 v29, v21, v13
	v_cndmask_b32_e64 v13, -v13, v13, s0
	ds_bpermute_b32 v21, v21, v9
	v_cndmask_b32_e64 v9, -v9, v9, s0
	s_waitcnt lgkmcnt(3)
	v_add_f32_e32 v25, v3, v25
	v_cndmask_b32_e64 v3, -v23, v23, s0
	v_cmp_eq_u32_e64 s0, 0, v0
	s_waitcnt lgkmcnt(2)
	v_add_f32_e32 v5, v5, v31
	s_delay_alu instid0(VALU_DEP_3) | instskip(NEXT) | instid1(VALU_DEP_3)
	v_dual_add_f32 v31, v2, v1 :: v_dual_add_f32 v24, v3, v24
	v_cndmask_b32_e64 v2, -v10, v10, s0
	ds_bpermute_b32 v23, v22, v5
	ds_bpermute_b32 v10, v22, v6
	v_cndmask_b32_e64 v3, -v5, v5, s0
	v_cndmask_b32_e64 v6, -v6, v6, s0
	v_add_f32_e32 v2, v2, v14
	ds_bpermute_b32 v27, v22, v7
	v_cndmask_b32_e64 v0, -v7, v7, s0
	v_cndmask_b32_e64 v4, -v12, v12, s0
	s_waitcnt lgkmcnt(1)
	v_dual_add_f32 v14, v6, v10 :: v_dual_add_f32 v3, v3, v23
	v_cndmask_b32_e64 v23, -v28, v28, s0
	ds_bpermute_b32 v7, v22, v11
	s_waitcnt lgkmcnt(1)
	v_add_f32_e32 v0, v0, v27
	ds_bpermute_b32 v27, v22, v28
	v_add_f32_e32 v13, v13, v29
	ds_bpermute_b32 v29, v22, v12
	v_cndmask_b32_e64 v1, -v11, v11, s0
	ds_bpermute_b32 v11, v22, v16
	ds_bpermute_b32 v12, v22, v8
	v_cndmask_b32_e64 v8, -v8, v8, s0
	v_cndmask_b32_e64 v10, -v24, v24, s0
	s_waitcnt lgkmcnt(2)
	v_add_f32_e32 v4, v4, v29
	ds_bpermute_b32 v30, v22, v15
	v_cndmask_b32_e64 v5, -v15, v15, s0
	v_cndmask_b32_e64 v15, -v16, v16, s0
	s_waitcnt lgkmcnt(1)
	v_dual_add_f32 v9, v9, v21 :: v_dual_add_f32 v16, v8, v12
	ds_bpermute_b32 v21, v22, v25
	v_add_f32_e32 v15, v15, v11
	v_cndmask_b32_e64 v11, -v26, v26, s0
	ds_bpermute_b32 v33, v22, v9
	v_add_f32_e32 v26, v11, v32
	ds_bpermute_b32 v29, v22, v31
	v_cndmask_b32_e64 v8, -v31, v31, s0
	v_add_f32_e32 v1, v1, v7
	ds_bpermute_b32 v7, v22, v13
	s_waitcnt lgkmcnt(4)
	v_add_f32_e32 v5, v5, v30
	ds_bpermute_b32 v30, v22, v24
	v_cndmask_b32_e64 v22, -v25, v25, s0
	s_waitcnt lgkmcnt(4)
	s_delay_alu instid0(VALU_DEP_1) | instskip(SKIP_1) | instid1(VALU_DEP_2)
	v_dual_add_f32 v21, v22, v21 :: v_dual_add_f32 v22, v23, v27
	v_cndmask_b32_e64 v6, -v13, v13, s0
	v_add_f32_e32 v12, v22, v26
	s_waitcnt lgkmcnt(2)
	v_add_f32_e32 v24, v8, v29
	v_add_f32_e32 v8, v2, v14
	s_waitcnt lgkmcnt(1)
	v_dual_add_f32 v23, v6, v7 :: v_dual_add_f32 v6, v0, v4
	v_cndmask_b32_e64 v9, -v9, v9, s0
	s_mul_i32 s0, s10, s12
	s_waitcnt lgkmcnt(0)
	v_dual_add_f32 v25, v10, v30 :: v_dual_add_f32 v10, v16, v24
	s_add_i32 s0, s1, s0
	v_add_f32_e32 v27, v9, v33
	s_mul_i32 s1, s11, s15
	v_add_f32_e32 v7, v1, v5
	s_add_i32 s1, s0, s1
	s_mul_i32 s0, s10, s15
	v_add_f32_e32 v9, v3, v15
	v_add_f32_e32 v11, v21, v25
	;; [unrolled: 1-line block ×3, first 2 shown]
	s_lshl_b64 s[0:1], s[0:1], 2
	s_delay_alu instid0(SALU_CYCLE_1)
	s_add_u32 s0, s6, s0
	s_addc_u32 s1, s7, s1
	s_and_saveexec_b32 s6, vcc_lo
	s_cbranch_execz .LBB6_10
; %bb.9:
	v_dual_add_f32 v28, v9, v13 :: v_dual_add_f32 v29, v8, v12
	v_dual_add_f32 v32, v7, v11 :: v_dual_add_f32 v33, v6, v10
	s_delay_alu instid0(VALU_DEP_2) | instskip(NEXT) | instid1(VALU_DEP_2)
	v_dual_mul_f32 v31, s5, v28 :: v_dual_mul_f32 v30, s5, v29
	v_dual_mul_f32 v29, s5, v32 :: v_dual_mul_f32 v28, s5, v33
	global_store_b128 v17, v[28:31], s[0:1]
.LBB6_10:
	s_or_b32 exec_lo, exec_lo, s6
	v_dual_sub_f32 v0, v0, v4 :: v_dual_sub_f32 v1, v1, v5
	v_dual_sub_f32 v2, v2, v14 :: v_dual_sub_f32 v3, v3, v15
	;; [unrolled: 1-line block ×4, first 2 shown]
	s_and_saveexec_b32 s6, s2
	s_cbranch_execnz .LBB6_14
; %bb.11:
	s_or_b32 exec_lo, exec_lo, s6
	s_and_saveexec_b32 s2, s3
	s_cbranch_execnz .LBB6_15
.LBB6_12:
	s_or_b32 exec_lo, exec_lo, s2
	s_and_saveexec_b32 s2, s4
	s_cbranch_execnz .LBB6_16
.LBB6_13:
	s_nop 0
	s_sendmsg sendmsg(MSG_DEALLOC_VGPRS)
	s_endpgm
.LBB6_14:
	s_delay_alu instid0(VALU_DEP_2) | instskip(NEXT) | instid1(VALU_DEP_2)
	v_dual_add_f32 v16, v0, v4 :: v_dual_add_f32 v17, v1, v5
	v_dual_add_f32 v23, v2, v14 :: v_dual_add_f32 v24, v3, v15
	s_delay_alu instid0(VALU_DEP_2) | instskip(NEXT) | instid1(VALU_DEP_2)
	v_dual_mul_f32 v21, s5, v16 :: v_dual_mul_f32 v22, s5, v17
	v_dual_mul_f32 v23, s5, v23 :: v_dual_mul_f32 v24, s5, v24
	global_store_b128 v18, v[21:24], s[0:1]
	s_or_b32 exec_lo, exec_lo, s6
	s_and_saveexec_b32 s2, s3
	s_cbranch_execz .LBB6_12
.LBB6_15:
	v_dual_sub_f32 v6, v6, v10 :: v_dual_sub_f32 v7, v7, v11
	v_dual_sub_f32 v8, v8, v12 :: v_dual_sub_f32 v9, v9, v13
	s_delay_alu instid0(VALU_DEP_2) | instskip(NEXT) | instid1(VALU_DEP_2)
	v_dual_mul_f32 v6, s5, v6 :: v_dual_mul_f32 v7, s5, v7
	v_dual_mul_f32 v8, s5, v8 :: v_dual_mul_f32 v9, s5, v9
	global_store_b128 v19, v[6:9], s[0:1]
	s_or_b32 exec_lo, exec_lo, s2
	s_and_saveexec_b32 s2, s4
	s_cbranch_execz .LBB6_13
.LBB6_16:
	v_dual_sub_f32 v0, v0, v4 :: v_dual_sub_f32 v1, v1, v5
	v_dual_sub_f32 v2, v2, v14 :: v_dual_sub_f32 v3, v3, v15
	s_delay_alu instid0(VALU_DEP_2) | instskip(NEXT) | instid1(VALU_DEP_2)
	v_dual_mul_f32 v0, s5, v0 :: v_dual_mul_f32 v1, s5, v1
	v_dual_mul_f32 v2, s5, v2 :: v_dual_mul_f32 v3, s5, v3
	global_store_b128 v20, v[0:3], s[0:1]
	s_nop 0
	s_sendmsg sendmsg(MSG_DEALLOC_VGPRS)
	s_endpgm
	.section	.rodata,"a",@progbits
	.p2align	6, 0x0
	.amdhsa_kernel _Z30fast_hadamard_transform_kernelI37fast_hadamard_transform_kernel_traitsILi32ELi9EfEEv18HadamardParamsBase
		.amdhsa_group_segment_fixed_size 0
		.amdhsa_private_segment_fixed_size 0
		.amdhsa_kernarg_size 312
		.amdhsa_user_sgpr_count 15
		.amdhsa_user_sgpr_dispatch_ptr 0
		.amdhsa_user_sgpr_queue_ptr 0
		.amdhsa_user_sgpr_kernarg_segment_ptr 1
		.amdhsa_user_sgpr_dispatch_id 0
		.amdhsa_user_sgpr_private_segment_size 0
		.amdhsa_wavefront_size32 1
		.amdhsa_uses_dynamic_stack 0
		.amdhsa_enable_private_segment 0
		.amdhsa_system_sgpr_workgroup_id_x 1
		.amdhsa_system_sgpr_workgroup_id_y 0
		.amdhsa_system_sgpr_workgroup_id_z 0
		.amdhsa_system_sgpr_workgroup_info 0
		.amdhsa_system_vgpr_workitem_id 0
		.amdhsa_next_free_vgpr 34
		.amdhsa_next_free_sgpr 16
		.amdhsa_reserve_vcc 1
		.amdhsa_float_round_mode_32 0
		.amdhsa_float_round_mode_16_64 0
		.amdhsa_float_denorm_mode_32 3
		.amdhsa_float_denorm_mode_16_64 3
		.amdhsa_dx10_clamp 1
		.amdhsa_ieee_mode 1
		.amdhsa_fp16_overflow 0
		.amdhsa_workgroup_processor_mode 1
		.amdhsa_memory_ordered 1
		.amdhsa_forward_progress 0
		.amdhsa_shared_vgpr_count 0
		.amdhsa_exception_fp_ieee_invalid_op 0
		.amdhsa_exception_fp_denorm_src 0
		.amdhsa_exception_fp_ieee_div_zero 0
		.amdhsa_exception_fp_ieee_overflow 0
		.amdhsa_exception_fp_ieee_underflow 0
		.amdhsa_exception_fp_ieee_inexact 0
		.amdhsa_exception_int_div_zero 0
	.end_amdhsa_kernel
	.section	.text._Z30fast_hadamard_transform_kernelI37fast_hadamard_transform_kernel_traitsILi32ELi9EfEEv18HadamardParamsBase,"axG",@progbits,_Z30fast_hadamard_transform_kernelI37fast_hadamard_transform_kernel_traitsILi32ELi9EfEEv18HadamardParamsBase,comdat
.Lfunc_end6:
	.size	_Z30fast_hadamard_transform_kernelI37fast_hadamard_transform_kernel_traitsILi32ELi9EfEEv18HadamardParamsBase, .Lfunc_end6-_Z30fast_hadamard_transform_kernelI37fast_hadamard_transform_kernel_traitsILi32ELi9EfEEv18HadamardParamsBase
                                        ; -- End function
	.section	.AMDGPU.csdata,"",@progbits
; Kernel info:
; codeLenInByte = 2860
; NumSgprs: 18
; NumVgprs: 34
; ScratchSize: 0
; MemoryBound: 0
; FloatMode: 240
; IeeeMode: 1
; LDSByteSize: 0 bytes/workgroup (compile time only)
; SGPRBlocks: 2
; VGPRBlocks: 4
; NumSGPRsForWavesPerEU: 18
; NumVGPRsForWavesPerEU: 34
; Occupancy: 16
; WaveLimiterHint : 0
; COMPUTE_PGM_RSRC2:SCRATCH_EN: 0
; COMPUTE_PGM_RSRC2:USER_SGPR: 15
; COMPUTE_PGM_RSRC2:TRAP_HANDLER: 0
; COMPUTE_PGM_RSRC2:TGID_X_EN: 1
; COMPUTE_PGM_RSRC2:TGID_Y_EN: 0
; COMPUTE_PGM_RSRC2:TGID_Z_EN: 0
; COMPUTE_PGM_RSRC2:TIDIG_COMP_CNT: 0
	.section	.text._Z30fast_hadamard_transform_kernelI37fast_hadamard_transform_kernel_traitsILi128ELi10EfEEv18HadamardParamsBase,"axG",@progbits,_Z30fast_hadamard_transform_kernelI37fast_hadamard_transform_kernel_traitsILi128ELi10EfEEv18HadamardParamsBase,comdat
	.protected	_Z30fast_hadamard_transform_kernelI37fast_hadamard_transform_kernel_traitsILi128ELi10EfEEv18HadamardParamsBase ; -- Begin function _Z30fast_hadamard_transform_kernelI37fast_hadamard_transform_kernel_traitsILi128ELi10EfEEv18HadamardParamsBase
	.globl	_Z30fast_hadamard_transform_kernelI37fast_hadamard_transform_kernel_traitsILi128ELi10EfEEv18HadamardParamsBase
	.p2align	8
	.type	_Z30fast_hadamard_transform_kernelI37fast_hadamard_transform_kernel_traitsILi128ELi10EfEEv18HadamardParamsBase,@function
_Z30fast_hadamard_transform_kernelI37fast_hadamard_transform_kernel_traitsILi128ELi10EfEEv18HadamardParamsBase: ; @_Z30fast_hadamard_transform_kernelI37fast_hadamard_transform_kernel_traitsILi128ELi10EfEEv18HadamardParamsBase
; %bb.0:
	s_clause 0x3
	s_load_b128 s[16:19], s[0:1], 0x10
	s_load_b32 s2, s[0:1], 0x4
	s_load_b128 s[8:11], s[0:1], 0x28
	s_load_b32 s3, s[0:1], 0x44
	s_ashr_i32 s7, s15, 31
	v_dual_mov_b32 v5, 0 :: v_dual_lshlrev_b32 v2, 2, v0
	v_dual_mov_b32 v1, 0 :: v_dual_mov_b32 v6, 0
	v_dual_mov_b32 v7, 0 :: v_dual_mov_b32 v8, 0
	v_lshlrev_b32_e32 v9, 4, v0
	s_waitcnt lgkmcnt(0)
	s_mul_hi_u32 s4, s16, s15
	s_mul_i32 s5, s16, s7
	s_mul_i32 s6, s17, s15
	s_add_i32 s5, s4, s5
	s_mul_i32 s4, s16, s15
	s_add_i32 s5, s5, s6
	v_cmp_gt_u32_e32 vcc_lo, s2, v2
	s_lshl_b64 s[4:5], s[4:5], 2
	s_delay_alu instid0(SALU_CYCLE_1)
	s_add_u32 s4, s8, s4
	s_addc_u32 s5, s9, s5
	s_and_saveexec_b32 s6, vcc_lo
	s_cbranch_execz .LBB7_2
; %bb.1:
	global_load_b128 v[5:8], v9, s[4:5]
.LBB7_2:
	s_or_b32 exec_lo, exec_lo, s6
	s_and_b32 s3, 0xffff, s3
	s_delay_alu instid0(SALU_CYCLE_1) | instskip(NEXT) | instid1(VALU_DEP_1)
	v_dual_mov_b32 v3, 0 :: v_dual_add_nc_u32 v4, s3, v0
	v_dual_mov_b32 v2, 0 :: v_dual_lshlrev_b32 v11, 2, v4
	v_lshlrev_b32_e32 v10, 4, v4
	v_mov_b32_e32 v4, 0
	s_delay_alu instid0(VALU_DEP_3) | instskip(NEXT) | instid1(VALU_DEP_1)
	v_cmp_gt_u32_e64 s2, s2, v11
	s_and_saveexec_b32 s3, s2
	s_cbranch_execz .LBB7_4
; %bb.3:
	global_load_b128 v[1:4], v10, s[4:5]
.LBB7_4:
	s_or_b32 exec_lo, exec_lo, s3
	v_mbcnt_lo_u32_b32 v11, -1, 0
	s_waitcnt vmcnt(0)
	v_add_f32_e32 v12, v5, v6
	v_sub_f32_e32 v5, v5, v6
	v_add_f32_e32 v6, v1, v2
	v_sub_f32_e32 v1, v1, v2
	v_xor_b32_e32 v13, 1, v11
	v_add_f32_e32 v2, v7, v8
	v_sub_f32_e32 v7, v7, v8
	v_add_f32_e32 v8, v3, v4
	v_sub_f32_e32 v3, v3, v4
	v_cmp_gt_i32_e64 s3, 32, v13
	v_dual_add_f32 v15, v12, v2 :: v_dual_and_b32 v4, 1, v0
	v_and_b32_e32 v14, 2, v0
	v_xor_b32_e32 v17, 4, v11
	s_delay_alu instid0(VALU_DEP_4) | instskip(NEXT) | instid1(VALU_DEP_4)
	v_cndmask_b32_e64 v13, v11, v13, s3
	v_cmp_eq_u32_e64 s4, 0, v4
	s_barrier
	s_delay_alu instid0(VALU_DEP_3) | instskip(NEXT) | instid1(VALU_DEP_3)
	v_cmp_gt_i32_e64 s5, 32, v17
	v_dual_sub_f32 v2, v12, v2 :: v_dual_lshlrev_b32 v13, 2, v13
	v_add_f32_e32 v12, v6, v8
	v_sub_f32_e32 v6, v6, v8
	s_delay_alu instid0(VALU_DEP_4)
	v_cndmask_b32_e64 v17, v11, v17, s5
	ds_bpermute_b32 v16, v13, v15
	v_cndmask_b32_e64 v15, -v15, v15, s4
	v_add_f32_e32 v8, v5, v7
	v_sub_f32_e32 v5, v5, v7
	v_add_f32_e32 v7, v1, v3
	v_sub_f32_e32 v1, v1, v3
	v_xor_b32_e32 v3, 2, v11
	ds_bpermute_b32 v19, v13, v2
	ds_bpermute_b32 v20, v13, v5
	v_cndmask_b32_e64 v5, -v5, v5, s4
	ds_bpermute_b32 v4, v13, v7
	v_cmp_gt_i32_e64 s3, 32, v3
	ds_bpermute_b32 v21, v13, v12
	v_cndmask_b32_e64 v2, -v2, v2, s4
	v_cndmask_b32_e64 v7, -v7, v7, s4
	;; [unrolled: 1-line block ×3, first 2 shown]
	v_cndmask_b32_e64 v3, v11, v3, s3
	v_cmp_eq_u32_e64 s3, 0, v14
	s_waitcnt lgkmcnt(0)
	buffer_gl0_inv
	v_dual_add_f32 v3, v15, v16 :: v_dual_lshlrev_b32 v22, 2, v3
	ds_bpermute_b32 v18, v13, v8
	ds_bpermute_b32 v16, v13, v1
	;; [unrolled: 1-line block ×3, first 2 shown]
	v_cndmask_b32_e64 v8, -v8, v8, s4
	v_cndmask_b32_e64 v1, -v1, v1, s4
	v_add_f32_e32 v5, v5, v20
	ds_bpermute_b32 v23, v22, v3
	v_cndmask_b32_e64 v6, -v6, v6, s4
	v_add_f32_e32 v2, v2, v19
	v_add_f32_e32 v4, v7, v4
	v_cndmask_b32_e64 v3, -v3, v3, s3
	v_add_f32_e32 v12, v12, v21
	s_waitcnt lgkmcnt(2)
	v_dual_add_f32 v8, v8, v18 :: v_dual_add_f32 v1, v1, v16
	ds_bpermute_b32 v18, v22, v5
	v_cndmask_b32_e64 v5, -v5, v5, s3
	s_waitcnt lgkmcnt(2)
	v_add_f32_e32 v6, v6, v15
	ds_bpermute_b32 v7, v22, v8
	v_lshlrev_b32_e32 v15, 2, v17
	ds_bpermute_b32 v14, v22, v2
	s_waitcnt lgkmcnt(3)
	v_add_f32_e32 v3, v3, v23
	ds_bpermute_b32 v19, v22, v12
	v_cndmask_b32_e64 v8, -v8, v8, s3
	v_cndmask_b32_e64 v2, -v2, v2, s3
	ds_bpermute_b32 v17, v22, v1
	v_cndmask_b32_e64 v12, -v12, v12, s3
	ds_bpermute_b32 v21, v15, v3
	v_cndmask_b32_e64 v1, -v1, v1, s3
	v_xor_b32_e32 v23, 8, v11
	s_delay_alu instid0(VALU_DEP_1)
	v_cmp_gt_i32_e64 s6, 32, v23
	s_waitcnt lgkmcnt(5)
	v_add_f32_e32 v5, v5, v18
	ds_bpermute_b32 v16, v22, v6
	v_cndmask_b32_e64 v6, -v6, v6, s3
	s_waitcnt lgkmcnt(5)
	v_add_f32_e32 v7, v8, v7
	ds_bpermute_b32 v20, v22, v4
	s_waitcnt lgkmcnt(5)
	v_add_f32_e32 v2, v2, v14
	v_cndmask_b32_e64 v4, -v4, v4, s3
	s_waitcnt lgkmcnt(4)
	v_add_f32_e32 v8, v12, v19
	ds_bpermute_b32 v14, v15, v7
	ds_bpermute_b32 v19, v15, v5
	s_waitcnt lgkmcnt(5)
	v_dual_add_f32 v1, v1, v17 :: v_dual_and_b32 v12, 4, v0
	ds_bpermute_b32 v18, v15, v2
	v_cmp_eq_u32_e64 s5, 0, v12
	v_cndmask_b32_e64 v12, v11, v23, s6
	s_delay_alu instid0(VALU_DEP_2)
	v_cndmask_b32_e64 v3, -v3, v3, s5
	s_waitcnt lgkmcnt(4)
	v_add_f32_e32 v6, v6, v16
	v_cndmask_b32_e64 v7, -v7, v7, s5
	v_lshlrev_b32_e32 v12, 2, v12
	s_waitcnt lgkmcnt(3)
	v_dual_add_f32 v4, v4, v20 :: v_dual_add_f32 v3, v3, v21
	ds_bpermute_b32 v20, v15, v8
	ds_bpermute_b32 v17, v15, v6
	s_waitcnt lgkmcnt(4)
	v_add_f32_e32 v7, v7, v14
	ds_bpermute_b32 v16, v15, v4
	ds_bpermute_b32 v15, v15, v1
	;; [unrolled: 1-line block ×3, first 2 shown]
	v_and_b32_e32 v14, 8, v0
	v_cndmask_b32_e64 v1, -v1, v1, s5
	v_cndmask_b32_e64 v2, -v2, v2, s5
	;; [unrolled: 1-line block ×5, first 2 shown]
	s_waitcnt lgkmcnt(6)
	s_delay_alu instid0(VALU_DEP_3)
	v_add_f32_e32 v5, v5, v19
	s_waitcnt lgkmcnt(1)
	v_add_f32_e32 v1, v1, v15
	v_cndmask_b32_e64 v6, -v6, v6, s5
	v_cmp_eq_u32_e64 s5, 0, v14
	v_xor_b32_e32 v15, 16, v11
	s_delay_alu instid0(VALU_DEP_3) | instskip(NEXT) | instid1(VALU_DEP_3)
	v_add_f32_e32 v6, v6, v17
	v_cndmask_b32_e64 v3, -v3, v3, s5
	s_delay_alu instid0(VALU_DEP_3) | instskip(SKIP_1) | instid1(VALU_DEP_2)
	v_cmp_gt_i32_e64 s6, 32, v15
	s_waitcnt lgkmcnt(0)
	v_add_f32_e32 v3, v3, v21
	v_and_b32_e32 v21, 16, v0
	ds_bpermute_b32 v14, v12, v5
	v_cndmask_b32_e64 v11, v11, v15, s6
	v_add_f32_e32 v2, v2, v18
	ds_bpermute_b32 v18, v12, v7
	v_cndmask_b32_e64 v7, -v7, v7, s5
	v_add_f32_e32 v8, v8, v20
	v_cndmask_b32_e64 v5, -v5, v5, s5
	v_add_f32_e32 v4, v4, v16
	ds_bpermute_b32 v17, v12, v6
	v_lshlrev_b32_e32 v11, 2, v11
	ds_bpermute_b32 v19, v12, v2
	v_cndmask_b32_e64 v2, -v2, v2, s5
	v_cndmask_b32_e64 v6, -v6, v6, s5
	s_waitcnt lgkmcnt(3)
	v_add_f32_e32 v5, v5, v14
	ds_bpermute_b32 v16, v12, v4
	ds_bpermute_b32 v14, v11, v3
	s_waitcnt lgkmcnt(4)
	v_add_f32_e32 v7, v7, v18
	ds_bpermute_b32 v20, v12, v8
	ds_bpermute_b32 v12, v12, v1
	v_cndmask_b32_e64 v8, -v8, v8, s5
	v_cndmask_b32_e64 v4, -v4, v4, s5
	;; [unrolled: 1-line block ×3, first 2 shown]
	v_cmp_eq_u32_e64 s5, 0, v21
	ds_bpermute_b32 v15, v11, v7
	s_waitcnt lgkmcnt(4)
	v_add_f32_e32 v16, v4, v16
	s_waitcnt lgkmcnt(2)
	v_add_f32_e32 v8, v8, v20
	;; [unrolled: 2-line block ×3, first 2 shown]
	v_cndmask_b32_e64 v1, -v3, v3, s5
	v_add_f32_e32 v2, v2, v19
	ds_bpermute_b32 v19, v11, v5
	ds_bpermute_b32 v20, v11, v8
	v_cndmask_b32_e64 v3, -v7, v7, s5
	v_add_f32_e32 v1, v1, v14
	ds_bpermute_b32 v18, v11, v2
	v_cndmask_b32_e64 v4, -v2, v2, s5
	v_cndmask_b32_e64 v5, -v5, v5, s5
	;; [unrolled: 1-line block ×3, first 2 shown]
	v_add_f32_e32 v6, v6, v17
	s_waitcnt lgkmcnt(3)
	v_add_f32_e32 v2, v3, v15
	ds_bpermute_b32 v17, v11, v16
	v_and_b32_e32 v14, 3, v0
	v_cndmask_b32_e64 v15, -v16, v16, s5
	v_lshrrev_b32_e32 v8, 5, v0
	s_waitcnt lgkmcnt(1)
	v_dual_add_f32 v3, v4, v18 :: v_dual_add_f32 v4, v5, v19
	v_add_f32_e32 v5, v7, v20
	ds_bpermute_b32 v21, v11, v6
	v_lshrrev_b32_e32 v7, 2, v0
	v_cndmask_b32_e64 v16, -v6, v6, s5
	v_xor_b32_e32 v0, v8, v0
	s_waitcnt lgkmcnt(1)
	v_add_f32_e32 v6, v15, v17
	v_lshl_or_b32 v18, v14, 5, v7
	s_waitcnt lgkmcnt(0)
	v_add_f32_e32 v7, v16, v21
	ds_bpermute_b32 v11, v11, v12
	v_cndmask_b32_e64 v12, -v12, v12, s5
	s_waitcnt lgkmcnt(0)
	s_delay_alu instid0(VALU_DEP_1)
	v_add_f32_e32 v8, v12, v11
	v_xor_b32_e32 v11, v18, v14
	v_lshl_add_u32 v12, v0, 4, 0
	ds_store_b128 v12, v[1:4]
	ds_store_b128 v12, v[5:8] offset:2048
	v_lshl_add_u32 v11, v11, 4, 0
	s_waitcnt lgkmcnt(0)
	s_barrier
	buffer_gl0_inv
	ds_load_b128 v[0:3], v11
	ds_load_b128 v[4:7], v11 offset:2048
	s_waitcnt lgkmcnt(0)
	s_barrier
	buffer_gl0_inv
	ds_bpermute_b32 v8, v13, v0
	ds_bpermute_b32 v14, v13, v1
	;; [unrolled: 1-line block ×8, first 2 shown]
	v_cndmask_b32_e64 v5, -v5, v5, s4
	v_cndmask_b32_e64 v7, -v7, v7, s4
	;; [unrolled: 1-line block ×8, first 2 shown]
	s_load_b32 s4, s[0:1], 0x20
	s_mul_i32 s0, s18, s7
	s_mul_hi_u32 s1, s18, s15
	s_delay_alu instid0(SALU_CYCLE_1)
	s_add_i32 s0, s1, s0
	s_waitcnt lgkmcnt(0)
	v_dual_add_f32 v1, v1, v14 :: v_dual_add_f32 v2, v2, v15
	v_add_f32_e32 v3, v3, v16
	s_mul_i32 s1, s19, s15
	v_dual_add_f32 v5, v5, v18 :: v_dual_add_f32 v6, v6, v19
	v_add_f32_e32 v7, v7, v13
	ds_bpermute_b32 v14, v22, v1
	ds_bpermute_b32 v15, v22, v2
	ds_bpermute_b32 v13, v22, v3
	ds_bpermute_b32 v18, v22, v6
	ds_bpermute_b32 v19, v22, v7
	v_cndmask_b32_e64 v7, -v7, v7, s3
	v_add_f32_e32 v4, v4, v17
	ds_bpermute_b32 v17, v22, v5
	v_cndmask_b32_e64 v5, -v5, v5, s3
	v_add_f32_e32 v0, v0, v8
	v_cndmask_b32_e64 v1, -v1, v1, s3
	v_cndmask_b32_e64 v2, -v2, v2, s3
	;; [unrolled: 1-line block ×4, first 2 shown]
	s_add_i32 s1, s0, s1
	s_mul_i32 s0, s18, s15
	s_delay_alu instid0(SALU_CYCLE_1) | instskip(NEXT) | instid1(SALU_CYCLE_1)
	s_lshl_b64 s[0:1], s[0:1], 2
	s_add_u32 s0, s10, s0
	s_waitcnt lgkmcnt(4)
	v_dual_add_f32 v1, v1, v14 :: v_dual_add_f32 v2, v2, v15
	s_waitcnt lgkmcnt(2)
	v_dual_add_f32 v3, v3, v13 :: v_dual_add_f32 v6, v6, v18
	s_waitcnt lgkmcnt(1)
	v_add_f32_e32 v7, v7, v19
	ds_bpermute_b32 v16, v22, v4
	v_cndmask_b32_e64 v4, -v4, v4, s3
	s_waitcnt lgkmcnt(1)
	v_add_f32_e32 v5, v5, v17
	ds_bpermute_b32 v8, v22, v0
	v_cndmask_b32_e64 v0, -v0, v0, s3
	s_addc_u32 s1, s11, s1
	s_waitcnt lgkmcnt(1)
	v_add_f32_e32 v4, v4, v16
	s_waitcnt lgkmcnt(0)
	v_add_f32_e32 v0, v0, v8
	ds_store_b128 v11, v[0:3]
	ds_store_b128 v11, v[4:7] offset:2048
	s_waitcnt lgkmcnt(0)
	s_barrier
	buffer_gl0_inv
	ds_load_b128 v[0:3], v12
	ds_load_b128 v[4:7], v12 offset:2048
	s_and_saveexec_b32 s3, vcc_lo
	s_cbranch_execnz .LBB7_7
; %bb.5:
	s_or_b32 exec_lo, exec_lo, s3
	s_and_saveexec_b32 s3, s2
	s_cbranch_execnz .LBB7_8
.LBB7_6:
	s_nop 0
	s_sendmsg sendmsg(MSG_DEALLOC_VGPRS)
	s_endpgm
.LBB7_7:
	s_waitcnt lgkmcnt(0)
	v_dual_add_f32 v8, v3, v7 :: v_dual_add_f32 v11, v2, v6
	v_dual_add_f32 v12, v1, v5 :: v_dual_add_f32 v15, v0, v4
	s_delay_alu instid0(VALU_DEP_2) | instskip(NEXT) | instid1(VALU_DEP_2)
	v_dual_mul_f32 v14, s4, v8 :: v_dual_mul_f32 v13, s4, v11
	v_dual_mul_f32 v12, s4, v12 :: v_dual_mul_f32 v11, s4, v15
	global_store_b128 v9, v[11:14], s[0:1]
	s_or_b32 exec_lo, exec_lo, s3
	s_and_saveexec_b32 s3, s2
	s_cbranch_execz .LBB7_6
.LBB7_8:
	s_waitcnt lgkmcnt(0)
	v_dual_sub_f32 v0, v0, v4 :: v_dual_sub_f32 v1, v1, v5
	v_dual_sub_f32 v2, v2, v6 :: v_dual_sub_f32 v3, v3, v7
	s_delay_alu instid0(VALU_DEP_2) | instskip(NEXT) | instid1(VALU_DEP_2)
	v_dual_mul_f32 v0, s4, v0 :: v_dual_mul_f32 v1, s4, v1
	v_dual_mul_f32 v2, s4, v2 :: v_dual_mul_f32 v3, s4, v3
	global_store_b128 v10, v[0:3], s[0:1]
	s_nop 0
	s_sendmsg sendmsg(MSG_DEALLOC_VGPRS)
	s_endpgm
	.section	.rodata,"a",@progbits
	.p2align	6, 0x0
	.amdhsa_kernel _Z30fast_hadamard_transform_kernelI37fast_hadamard_transform_kernel_traitsILi128ELi10EfEEv18HadamardParamsBase
		.amdhsa_group_segment_fixed_size 0
		.amdhsa_private_segment_fixed_size 0
		.amdhsa_kernarg_size 312
		.amdhsa_user_sgpr_count 15
		.amdhsa_user_sgpr_dispatch_ptr 0
		.amdhsa_user_sgpr_queue_ptr 0
		.amdhsa_user_sgpr_kernarg_segment_ptr 1
		.amdhsa_user_sgpr_dispatch_id 0
		.amdhsa_user_sgpr_private_segment_size 0
		.amdhsa_wavefront_size32 1
		.amdhsa_uses_dynamic_stack 0
		.amdhsa_enable_private_segment 0
		.amdhsa_system_sgpr_workgroup_id_x 1
		.amdhsa_system_sgpr_workgroup_id_y 0
		.amdhsa_system_sgpr_workgroup_id_z 0
		.amdhsa_system_sgpr_workgroup_info 0
		.amdhsa_system_vgpr_workitem_id 0
		.amdhsa_next_free_vgpr 24
		.amdhsa_next_free_sgpr 20
		.amdhsa_reserve_vcc 1
		.amdhsa_float_round_mode_32 0
		.amdhsa_float_round_mode_16_64 0
		.amdhsa_float_denorm_mode_32 3
		.amdhsa_float_denorm_mode_16_64 3
		.amdhsa_dx10_clamp 1
		.amdhsa_ieee_mode 1
		.amdhsa_fp16_overflow 0
		.amdhsa_workgroup_processor_mode 1
		.amdhsa_memory_ordered 1
		.amdhsa_forward_progress 0
		.amdhsa_shared_vgpr_count 0
		.amdhsa_exception_fp_ieee_invalid_op 0
		.amdhsa_exception_fp_denorm_src 0
		.amdhsa_exception_fp_ieee_div_zero 0
		.amdhsa_exception_fp_ieee_overflow 0
		.amdhsa_exception_fp_ieee_underflow 0
		.amdhsa_exception_fp_ieee_inexact 0
		.amdhsa_exception_int_div_zero 0
	.end_amdhsa_kernel
	.section	.text._Z30fast_hadamard_transform_kernelI37fast_hadamard_transform_kernel_traitsILi128ELi10EfEEv18HadamardParamsBase,"axG",@progbits,_Z30fast_hadamard_transform_kernelI37fast_hadamard_transform_kernel_traitsILi128ELi10EfEEv18HadamardParamsBase,comdat
.Lfunc_end7:
	.size	_Z30fast_hadamard_transform_kernelI37fast_hadamard_transform_kernel_traitsILi128ELi10EfEEv18HadamardParamsBase, .Lfunc_end7-_Z30fast_hadamard_transform_kernelI37fast_hadamard_transform_kernel_traitsILi128ELi10EfEEv18HadamardParamsBase
                                        ; -- End function
	.section	.AMDGPU.csdata,"",@progbits
; Kernel info:
; codeLenInByte = 2116
; NumSgprs: 22
; NumVgprs: 24
; ScratchSize: 0
; MemoryBound: 0
; FloatMode: 240
; IeeeMode: 1
; LDSByteSize: 0 bytes/workgroup (compile time only)
; SGPRBlocks: 2
; VGPRBlocks: 2
; NumSGPRsForWavesPerEU: 22
; NumVGPRsForWavesPerEU: 24
; Occupancy: 16
; WaveLimiterHint : 0
; COMPUTE_PGM_RSRC2:SCRATCH_EN: 0
; COMPUTE_PGM_RSRC2:USER_SGPR: 15
; COMPUTE_PGM_RSRC2:TRAP_HANDLER: 0
; COMPUTE_PGM_RSRC2:TGID_X_EN: 1
; COMPUTE_PGM_RSRC2:TGID_Y_EN: 0
; COMPUTE_PGM_RSRC2:TGID_Z_EN: 0
; COMPUTE_PGM_RSRC2:TIDIG_COMP_CNT: 0
	.section	.text._Z30fast_hadamard_transform_kernelI37fast_hadamard_transform_kernel_traitsILi256ELi11EfEEv18HadamardParamsBase,"axG",@progbits,_Z30fast_hadamard_transform_kernelI37fast_hadamard_transform_kernel_traitsILi256ELi11EfEEv18HadamardParamsBase,comdat
	.protected	_Z30fast_hadamard_transform_kernelI37fast_hadamard_transform_kernel_traitsILi256ELi11EfEEv18HadamardParamsBase ; -- Begin function _Z30fast_hadamard_transform_kernelI37fast_hadamard_transform_kernel_traitsILi256ELi11EfEEv18HadamardParamsBase
	.globl	_Z30fast_hadamard_transform_kernelI37fast_hadamard_transform_kernel_traitsILi256ELi11EfEEv18HadamardParamsBase
	.p2align	8
	.type	_Z30fast_hadamard_transform_kernelI37fast_hadamard_transform_kernel_traitsILi256ELi11EfEEv18HadamardParamsBase,@function
_Z30fast_hadamard_transform_kernelI37fast_hadamard_transform_kernel_traitsILi256ELi11EfEEv18HadamardParamsBase: ; @_Z30fast_hadamard_transform_kernelI37fast_hadamard_transform_kernel_traitsILi256ELi11EfEEv18HadamardParamsBase
; %bb.0:
	s_clause 0x3
	s_load_b128 s[16:19], s[0:1], 0x10
	s_load_b32 s2, s[0:1], 0x4
	s_load_b128 s[8:11], s[0:1], 0x28
	s_load_b32 s3, s[0:1], 0x44
	s_ashr_i32 s12, s15, 31
	v_dual_mov_b32 v5, 0 :: v_dual_lshlrev_b32 v2, 2, v0
	v_dual_mov_b32 v1, 0 :: v_dual_mov_b32 v6, 0
	v_dual_mov_b32 v7, 0 :: v_dual_mov_b32 v8, 0
	v_lshlrev_b32_e32 v9, 4, v0
	s_waitcnt lgkmcnt(0)
	s_mul_hi_u32 s4, s16, s15
	s_mul_i32 s5, s16, s12
	s_mul_i32 s6, s17, s15
	s_add_i32 s5, s4, s5
	s_mul_i32 s4, s16, s15
	s_add_i32 s5, s5, s6
	v_cmp_gt_u32_e32 vcc_lo, s2, v2
	s_lshl_b64 s[4:5], s[4:5], 2
	s_delay_alu instid0(SALU_CYCLE_1)
	s_add_u32 s4, s8, s4
	s_addc_u32 s5, s9, s5
	s_and_saveexec_b32 s6, vcc_lo
	s_cbranch_execz .LBB8_2
; %bb.1:
	global_load_b128 v[5:8], v9, s[4:5]
.LBB8_2:
	s_or_b32 exec_lo, exec_lo, s6
	s_and_b32 s3, 0xffff, s3
	s_delay_alu instid0(SALU_CYCLE_1) | instskip(NEXT) | instid1(VALU_DEP_1)
	v_dual_mov_b32 v3, 0 :: v_dual_add_nc_u32 v4, s3, v0
	v_dual_mov_b32 v2, 0 :: v_dual_lshlrev_b32 v11, 2, v4
	v_lshlrev_b32_e32 v10, 4, v4
	v_mov_b32_e32 v4, 0
	s_delay_alu instid0(VALU_DEP_3) | instskip(NEXT) | instid1(VALU_DEP_1)
	v_cmp_gt_u32_e64 s2, s2, v11
	s_and_saveexec_b32 s3, s2
	s_cbranch_execz .LBB8_4
; %bb.3:
	global_load_b128 v[1:4], v10, s[4:5]
.LBB8_4:
	s_or_b32 exec_lo, exec_lo, s3
	v_mbcnt_lo_u32_b32 v11, -1, 0
	s_waitcnt vmcnt(0)
	v_add_f32_e32 v12, v5, v6
	v_sub_f32_e32 v5, v5, v6
	v_add_f32_e32 v6, v1, v2
	v_sub_f32_e32 v1, v1, v2
	v_xor_b32_e32 v13, 1, v11
	v_add_f32_e32 v2, v7, v8
	v_sub_f32_e32 v7, v7, v8
	v_add_f32_e32 v8, v3, v4
	v_sub_f32_e32 v3, v3, v4
	v_cmp_gt_i32_e64 s3, 32, v13
	v_dual_add_f32 v15, v12, v2 :: v_dual_and_b32 v4, 1, v0
	v_and_b32_e32 v14, 2, v0
	v_xor_b32_e32 v17, 4, v11
	s_delay_alu instid0(VALU_DEP_4) | instskip(NEXT) | instid1(VALU_DEP_4)
	v_cndmask_b32_e64 v13, v11, v13, s3
	v_cmp_eq_u32_e64 s4, 0, v4
	s_barrier
	s_delay_alu instid0(VALU_DEP_3) | instskip(NEXT) | instid1(VALU_DEP_3)
	v_cmp_gt_i32_e64 s5, 32, v17
	v_dual_sub_f32 v2, v12, v2 :: v_dual_lshlrev_b32 v13, 2, v13
	v_add_f32_e32 v12, v6, v8
	v_sub_f32_e32 v6, v6, v8
	s_delay_alu instid0(VALU_DEP_4)
	v_cndmask_b32_e64 v17, v11, v17, s5
	ds_bpermute_b32 v16, v13, v15
	v_cndmask_b32_e64 v15, -v15, v15, s4
	v_add_f32_e32 v8, v5, v7
	v_sub_f32_e32 v5, v5, v7
	v_add_f32_e32 v7, v1, v3
	v_sub_f32_e32 v1, v1, v3
	v_xor_b32_e32 v3, 2, v11
	ds_bpermute_b32 v19, v13, v2
	ds_bpermute_b32 v20, v13, v5
	v_cndmask_b32_e64 v5, -v5, v5, s4
	ds_bpermute_b32 v21, v13, v12
	v_cmp_gt_i32_e64 s3, 32, v3
	ds_bpermute_b32 v4, v13, v7
	v_cndmask_b32_e64 v2, -v2, v2, s4
	v_cndmask_b32_e64 v12, -v12, v12, s4
	;; [unrolled: 1-line block ×3, first 2 shown]
	v_cndmask_b32_e64 v3, v11, v3, s3
	v_cmp_eq_u32_e64 s3, 0, v14
	s_waitcnt lgkmcnt(0)
	buffer_gl0_inv
	v_dual_add_f32 v3, v15, v16 :: v_dual_lshlrev_b32 v22, 2, v3
	ds_bpermute_b32 v18, v13, v8
	ds_bpermute_b32 v16, v13, v1
	;; [unrolled: 1-line block ×3, first 2 shown]
	v_cndmask_b32_e64 v8, -v8, v8, s4
	v_cndmask_b32_e64 v1, -v1, v1, s4
	v_add_f32_e32 v5, v5, v20
	ds_bpermute_b32 v23, v22, v3
	v_cndmask_b32_e64 v6, -v6, v6, s4
	v_add_f32_e32 v2, v2, v19
	v_add_f32_e32 v4, v7, v4
	v_cndmask_b32_e64 v3, -v3, v3, s3
	v_add_f32_e32 v12, v12, v21
	s_waitcnt lgkmcnt(2)
	v_dual_add_f32 v8, v8, v18 :: v_dual_add_f32 v1, v1, v16
	ds_bpermute_b32 v18, v22, v5
	v_cndmask_b32_e64 v5, -v5, v5, s3
	s_waitcnt lgkmcnt(2)
	v_add_f32_e32 v6, v6, v15
	ds_bpermute_b32 v7, v22, v8
	s_waitcnt lgkmcnt(2)
	v_add_f32_e32 v3, v3, v23
	ds_bpermute_b32 v19, v22, v12
	v_lshlrev_b32_e32 v15, 2, v17
	ds_bpermute_b32 v14, v22, v2
	v_cndmask_b32_e64 v8, -v8, v8, s3
	v_cndmask_b32_e64 v2, -v2, v2, s3
	ds_bpermute_b32 v17, v22, v1
	v_cndmask_b32_e64 v12, -v12, v12, s3
	ds_bpermute_b32 v21, v15, v3
	v_cndmask_b32_e64 v1, -v1, v1, s3
	v_xor_b32_e32 v23, 8, v11
	s_delay_alu instid0(VALU_DEP_1)
	v_cmp_gt_i32_e64 s6, 32, v23
	s_waitcnt lgkmcnt(5)
	v_add_f32_e32 v5, v5, v18
	ds_bpermute_b32 v16, v22, v6
	v_cndmask_b32_e64 v6, -v6, v6, s3
	s_waitcnt lgkmcnt(5)
	v_add_f32_e32 v7, v8, v7
	ds_bpermute_b32 v20, v22, v4
	s_waitcnt lgkmcnt(5)
	v_add_f32_e32 v8, v12, v19
	ds_bpermute_b32 v19, v15, v5
	s_waitcnt lgkmcnt(5)
	v_add_f32_e32 v2, v2, v14
	v_and_b32_e32 v12, 4, v0
	ds_bpermute_b32 v14, v15, v7
	v_cndmask_b32_e64 v4, -v4, v4, s3
	s_waitcnt lgkmcnt(5)
	v_add_f32_e32 v1, v1, v17
	ds_bpermute_b32 v18, v15, v2
	v_cmp_eq_u32_e64 s5, 0, v12
	v_cndmask_b32_e64 v12, v11, v23, s6
	s_delay_alu instid0(VALU_DEP_2) | instskip(SKIP_1) | instid1(VALU_DEP_3)
	v_cndmask_b32_e64 v3, -v3, v3, s5
	v_cndmask_b32_e64 v7, -v7, v7, s5
	v_lshlrev_b32_e32 v12, 2, v12
	v_cndmask_b32_e64 v5, -v5, v5, s5
	v_cndmask_b32_e64 v2, -v2, v2, s5
	s_waitcnt lgkmcnt(3)
	v_dual_add_f32 v3, v3, v21 :: v_dual_add_f32 v4, v4, v20
	ds_bpermute_b32 v21, v15, v1
	v_cndmask_b32_e64 v1, -v1, v1, s5
	v_add_f32_e32 v6, v6, v16
	ds_bpermute_b32 v23, v12, v3
	s_waitcnt lgkmcnt(3)
	v_add_f32_e32 v7, v7, v14
	ds_bpermute_b32 v16, v15, v4
	v_dual_add_f32 v5, v5, v19 :: v_dual_and_b32 v14, 8, v0
	v_cndmask_b32_e64 v4, -v4, v4, s5
	ds_bpermute_b32 v20, v15, v8
	v_cndmask_b32_e64 v8, -v8, v8, s5
	v_cmp_eq_u32_e64 s6, 0, v14
	s_delay_alu instid0(VALU_DEP_1)
	v_cndmask_b32_e64 v3, -v3, v3, s6
	s_waitcnt lgkmcnt(3)
	v_add_f32_e32 v1, v1, v21
	ds_bpermute_b32 v17, v15, v6
	v_cndmask_b32_e64 v6, -v6, v6, s5
	s_waitcnt lgkmcnt(3)
	v_add_f32_e32 v3, v3, v23
	ds_bpermute_b32 v14, v12, v5
	v_cndmask_b32_e64 v5, -v5, v5, s6
	s_waitcnt lgkmcnt(3)
	v_add_f32_e32 v4, v4, v16
	v_xor_b32_e32 v16, 16, v11
	v_and_b32_e32 v23, 16, v0
	s_delay_alu instid0(VALU_DEP_2) | instskip(NEXT) | instid1(VALU_DEP_1)
	v_cmp_gt_i32_e64 s7, 32, v16
	v_cndmask_b32_e64 v11, v11, v16, s7
	v_add_f32_e32 v2, v2, v18
	ds_bpermute_b32 v18, v12, v7
	v_cndmask_b32_e64 v7, -v7, v7, s6
	s_waitcnt lgkmcnt(3)
	v_add_f32_e32 v8, v8, v20
	s_waitcnt lgkmcnt(2)
	v_dual_add_f32 v6, v6, v17 :: v_dual_lshlrev_b32 v11, 2, v11
	ds_bpermute_b32 v19, v12, v2
	s_waitcnt lgkmcnt(2)
	v_add_f32_e32 v5, v5, v14
	ds_bpermute_b32 v17, v12, v4
	ds_bpermute_b32 v21, v12, v6
	;; [unrolled: 1-line block ×3, first 2 shown]
	v_cndmask_b32_e64 v2, -v2, v2, s6
	v_cndmask_b32_e64 v4, -v4, v4, s6
	;; [unrolled: 1-line block ×3, first 2 shown]
	s_waitcnt lgkmcnt(4)
	v_add_f32_e32 v7, v7, v18
	ds_bpermute_b32 v20, v12, v8
	ds_bpermute_b32 v12, v12, v1
	v_cndmask_b32_e64 v8, -v8, v8, s6
	v_cndmask_b32_e64 v1, -v1, v1, s6
	v_cmp_eq_u32_e64 s6, 0, v23
	ds_bpermute_b32 v16, v11, v7
	s_waitcnt lgkmcnt(1)
	v_dual_add_f32 v17, v4, v17 :: v_dual_add_f32 v12, v1, v12
	v_cndmask_b32_e64 v1, -v3, v3, s6
	v_add_f32_e32 v2, v2, v19
	v_cndmask_b32_e64 v3, -v7, v7, s6
	ds_bpermute_b32 v19, v11, v5
	v_cndmask_b32_e64 v5, -v5, v5, s6
	v_add_f32_e32 v1, v1, v14
	ds_bpermute_b32 v18, v11, v2
	v_cndmask_b32_e64 v4, -v2, v2, s6
	v_add_f32_e32 v6, v6, v21
	ds_bpermute_b32 v21, v11, v17
	s_waitcnt lgkmcnt(3)
	v_add_f32_e32 v2, v3, v16
	v_cndmask_b32_e64 v16, -v17, v17, s6
	s_waitcnt lgkmcnt(1)
	v_dual_add_f32 v3, v4, v18 :: v_dual_and_b32 v14, 7, v0
	ds_bpermute_b32 v23, v11, v6
	v_cndmask_b32_e64 v17, -v6, v6, s6
	v_add_f32_e32 v8, v8, v20
	s_waitcnt lgkmcnt(1)
	v_add_f32_e32 v6, v16, v21
	ds_bpermute_b32 v20, v11, v8
	ds_bpermute_b32 v11, v11, v12
	v_cndmask_b32_e64 v7, -v8, v8, s6
	v_add_f32_e32 v4, v5, v19
	v_lshrrev_b32_e32 v8, 5, v0
	v_cndmask_b32_e64 v12, -v12, v12, s6
	s_waitcnt lgkmcnt(1)
	v_add_f32_e32 v5, v7, v20
	v_lshrrev_b32_e32 v7, 3, v0
	v_xor_b32_e32 v0, v8, v0
	s_waitcnt lgkmcnt(0)
	v_add_f32_e32 v8, v12, v11
	s_delay_alu instid0(VALU_DEP_3) | instskip(NEXT) | instid1(VALU_DEP_3)
	v_lshl_or_b32 v18, v14, 5, v7
	v_lshl_add_u32 v12, v0, 4, 0
	v_add_f32_e32 v7, v17, v23
	ds_store_b128 v12, v[1:4]
	ds_store_b128 v12, v[5:8] offset:4096
	v_xor_b32_e32 v11, v18, v14
	s_waitcnt lgkmcnt(0)
	s_barrier
	buffer_gl0_inv
	v_lshl_add_u32 v11, v11, 4, 0
	ds_load_b128 v[0:3], v11
	ds_load_b128 v[4:7], v11 offset:4096
	s_waitcnt lgkmcnt(0)
	s_barrier
	buffer_gl0_inv
	ds_bpermute_b32 v14, v13, v1
	v_cndmask_b32_e64 v1, -v1, v1, s4
	ds_bpermute_b32 v8, v13, v0
	ds_bpermute_b32 v16, v13, v2
	;; [unrolled: 1-line block ×7, first 2 shown]
	v_cndmask_b32_e64 v3, -v3, v3, s4
	v_cndmask_b32_e64 v5, -v5, v5, s4
	;; [unrolled: 1-line block ×7, first 2 shown]
	s_waitcnt lgkmcnt(7)
	v_add_f32_e32 v1, v1, v14
	s_waitcnt lgkmcnt(4)
	v_add_f32_e32 v3, v3, v17
	ds_bpermute_b32 v14, v22, v1
	v_cndmask_b32_e64 v1, -v1, v1, s3
	s_waitcnt lgkmcnt(3)
	v_add_f32_e32 v5, v5, v19
	s_waitcnt lgkmcnt(1)
	v_add_f32_e32 v7, v7, v13
	ds_bpermute_b32 v13, v22, v3
	v_cndmask_b32_e64 v3, -v3, v3, s3
	s_waitcnt lgkmcnt(1)
	v_dual_add_f32 v0, v0, v8 :: v_dual_add_f32 v1, v1, v14
	s_waitcnt lgkmcnt(0)
	s_delay_alu instid0(VALU_DEP_2)
	v_add_f32_e32 v3, v3, v13
	ds_bpermute_b32 v14, v15, v1
	v_cndmask_b32_e64 v1, -v1, v1, s5
	v_add_f32_e32 v6, v6, v20
	ds_bpermute_b32 v20, v22, v7
	v_cndmask_b32_e64 v7, -v7, v7, s3
	;; [unrolled: 3-line block ×3, first 2 shown]
	v_add_f32_e32 v2, v2, v16
	ds_bpermute_b32 v8, v22, v0
	ds_bpermute_b32 v13, v15, v3
	v_cndmask_b32_e64 v0, -v0, v0, s3
	v_cndmask_b32_e64 v3, -v3, v3, s5
	s_waitcnt lgkmcnt(4)
	v_add_f32_e32 v1, v1, v14
	ds_bpermute_b32 v19, v22, v6
	v_cndmask_b32_e64 v6, -v6, v6, s3
	s_waitcnt lgkmcnt(4)
	v_add_f32_e32 v7, v7, v20
	ds_bpermute_b32 v17, v22, v4
	;; [unrolled: 4-line block ×3, first 2 shown]
	v_cndmask_b32_e64 v2, -v2, v2, s3
	s_waitcnt lgkmcnt(3)
	v_dual_add_f32 v0, v0, v8 :: v_dual_add_f32 v3, v3, v13
	ds_bpermute_b32 v18, v15, v5
	v_cndmask_b32_e64 v5, -v5, v5, s5
	s_load_b32 s3, s[0:1], 0x20
	ds_bpermute_b32 v8, v15, v0
	v_cndmask_b32_e64 v0, -v0, v0, s5
	s_mul_i32 s0, s18, s12
	s_mul_hi_u32 s1, s18, s15
	s_delay_alu instid0(SALU_CYCLE_1)
	s_add_i32 s0, s1, s0
	s_mul_i32 s1, s19, s15
	s_waitcnt lgkmcnt(0)
	v_add_f32_e32 v6, v6, v19
	s_add_i32 s1, s0, s1
	s_mul_i32 s0, s18, s15
	v_add_f32_e32 v4, v4, v17
	s_lshl_b64 s[0:1], s[0:1], 2
	ds_bpermute_b32 v19, v15, v6
	v_add_f32_e32 v2, v2, v16
	v_cndmask_b32_e64 v6, -v6, v6, s5
	ds_bpermute_b32 v17, v15, v4
	s_add_u32 s0, s10, s0
	v_add_f32_e32 v5, v5, v18
	ds_bpermute_b32 v16, v15, v2
	ds_bpermute_b32 v15, v15, v7
	v_cndmask_b32_e64 v7, -v7, v7, s5
	v_cndmask_b32_e64 v2, -v2, v2, s5
	v_add_f32_e32 v0, v0, v8
	s_addc_u32 s1, s11, s1
	s_waitcnt lgkmcnt(3)
	v_add_f32_e32 v6, v6, v19
	s_waitcnt lgkmcnt(0)
	v_dual_add_f32 v2, v2, v16 :: v_dual_add_f32 v7, v7, v15
	v_cndmask_b32_e64 v4, -v4, v4, s5
	s_delay_alu instid0(VALU_DEP_1)
	v_add_f32_e32 v4, v4, v17
	ds_store_b128 v11, v[0:3]
	ds_store_b128 v11, v[4:7] offset:4096
	s_waitcnt lgkmcnt(0)
	s_barrier
	buffer_gl0_inv
	ds_load_b128 v[0:3], v12
	ds_load_b128 v[4:7], v12 offset:4096
	s_and_saveexec_b32 s4, vcc_lo
	s_cbranch_execnz .LBB8_7
; %bb.5:
	s_or_b32 exec_lo, exec_lo, s4
	s_and_saveexec_b32 s4, s2
	s_cbranch_execnz .LBB8_8
.LBB8_6:
	s_nop 0
	s_sendmsg sendmsg(MSG_DEALLOC_VGPRS)
	s_endpgm
.LBB8_7:
	s_waitcnt lgkmcnt(0)
	v_dual_add_f32 v8, v3, v7 :: v_dual_add_f32 v11, v2, v6
	v_dual_add_f32 v12, v1, v5 :: v_dual_add_f32 v15, v0, v4
	s_delay_alu instid0(VALU_DEP_2) | instskip(NEXT) | instid1(VALU_DEP_2)
	v_dual_mul_f32 v14, s3, v8 :: v_dual_mul_f32 v13, s3, v11
	v_dual_mul_f32 v12, s3, v12 :: v_dual_mul_f32 v11, s3, v15
	global_store_b128 v9, v[11:14], s[0:1]
	s_or_b32 exec_lo, exec_lo, s4
	s_and_saveexec_b32 s4, s2
	s_cbranch_execz .LBB8_6
.LBB8_8:
	s_waitcnt lgkmcnt(0)
	v_dual_sub_f32 v0, v0, v4 :: v_dual_sub_f32 v1, v1, v5
	v_dual_sub_f32 v2, v2, v6 :: v_dual_sub_f32 v3, v3, v7
	s_delay_alu instid0(VALU_DEP_2) | instskip(NEXT) | instid1(VALU_DEP_2)
	v_dual_mul_f32 v0, s3, v0 :: v_dual_mul_f32 v1, s3, v1
	v_dual_mul_f32 v2, s3, v2 :: v_dual_mul_f32 v3, s3, v3
	global_store_b128 v10, v[0:3], s[0:1]
	s_nop 0
	s_sendmsg sendmsg(MSG_DEALLOC_VGPRS)
	s_endpgm
	.section	.rodata,"a",@progbits
	.p2align	6, 0x0
	.amdhsa_kernel _Z30fast_hadamard_transform_kernelI37fast_hadamard_transform_kernel_traitsILi256ELi11EfEEv18HadamardParamsBase
		.amdhsa_group_segment_fixed_size 0
		.amdhsa_private_segment_fixed_size 0
		.amdhsa_kernarg_size 312
		.amdhsa_user_sgpr_count 15
		.amdhsa_user_sgpr_dispatch_ptr 0
		.amdhsa_user_sgpr_queue_ptr 0
		.amdhsa_user_sgpr_kernarg_segment_ptr 1
		.amdhsa_user_sgpr_dispatch_id 0
		.amdhsa_user_sgpr_private_segment_size 0
		.amdhsa_wavefront_size32 1
		.amdhsa_uses_dynamic_stack 0
		.amdhsa_enable_private_segment 0
		.amdhsa_system_sgpr_workgroup_id_x 1
		.amdhsa_system_sgpr_workgroup_id_y 0
		.amdhsa_system_sgpr_workgroup_id_z 0
		.amdhsa_system_sgpr_workgroup_info 0
		.amdhsa_system_vgpr_workitem_id 0
		.amdhsa_next_free_vgpr 24
		.amdhsa_next_free_sgpr 20
		.amdhsa_reserve_vcc 1
		.amdhsa_float_round_mode_32 0
		.amdhsa_float_round_mode_16_64 0
		.amdhsa_float_denorm_mode_32 3
		.amdhsa_float_denorm_mode_16_64 3
		.amdhsa_dx10_clamp 1
		.amdhsa_ieee_mode 1
		.amdhsa_fp16_overflow 0
		.amdhsa_workgroup_processor_mode 1
		.amdhsa_memory_ordered 1
		.amdhsa_forward_progress 0
		.amdhsa_shared_vgpr_count 0
		.amdhsa_exception_fp_ieee_invalid_op 0
		.amdhsa_exception_fp_denorm_src 0
		.amdhsa_exception_fp_ieee_div_zero 0
		.amdhsa_exception_fp_ieee_overflow 0
		.amdhsa_exception_fp_ieee_underflow 0
		.amdhsa_exception_fp_ieee_inexact 0
		.amdhsa_exception_int_div_zero 0
	.end_amdhsa_kernel
	.section	.text._Z30fast_hadamard_transform_kernelI37fast_hadamard_transform_kernel_traitsILi256ELi11EfEEv18HadamardParamsBase,"axG",@progbits,_Z30fast_hadamard_transform_kernelI37fast_hadamard_transform_kernel_traitsILi256ELi11EfEEv18HadamardParamsBase,comdat
.Lfunc_end8:
	.size	_Z30fast_hadamard_transform_kernelI37fast_hadamard_transform_kernel_traitsILi256ELi11EfEEv18HadamardParamsBase, .Lfunc_end8-_Z30fast_hadamard_transform_kernelI37fast_hadamard_transform_kernel_traitsILi256ELi11EfEEv18HadamardParamsBase
                                        ; -- End function
	.section	.AMDGPU.csdata,"",@progbits
; Kernel info:
; codeLenInByte = 2296
; NumSgprs: 22
; NumVgprs: 24
; ScratchSize: 0
; MemoryBound: 0
; FloatMode: 240
; IeeeMode: 1
; LDSByteSize: 0 bytes/workgroup (compile time only)
; SGPRBlocks: 2
; VGPRBlocks: 2
; NumSGPRsForWavesPerEU: 22
; NumVGPRsForWavesPerEU: 24
; Occupancy: 16
; WaveLimiterHint : 0
; COMPUTE_PGM_RSRC2:SCRATCH_EN: 0
; COMPUTE_PGM_RSRC2:USER_SGPR: 15
; COMPUTE_PGM_RSRC2:TRAP_HANDLER: 0
; COMPUTE_PGM_RSRC2:TGID_X_EN: 1
; COMPUTE_PGM_RSRC2:TGID_Y_EN: 0
; COMPUTE_PGM_RSRC2:TGID_Z_EN: 0
; COMPUTE_PGM_RSRC2:TIDIG_COMP_CNT: 0
	.section	.text._Z30fast_hadamard_transform_kernelI37fast_hadamard_transform_kernel_traitsILi256ELi12EfEEv18HadamardParamsBase,"axG",@progbits,_Z30fast_hadamard_transform_kernelI37fast_hadamard_transform_kernel_traitsILi256ELi12EfEEv18HadamardParamsBase,comdat
	.protected	_Z30fast_hadamard_transform_kernelI37fast_hadamard_transform_kernel_traitsILi256ELi12EfEEv18HadamardParamsBase ; -- Begin function _Z30fast_hadamard_transform_kernelI37fast_hadamard_transform_kernel_traitsILi256ELi12EfEEv18HadamardParamsBase
	.globl	_Z30fast_hadamard_transform_kernelI37fast_hadamard_transform_kernel_traitsILi256ELi12EfEEv18HadamardParamsBase
	.p2align	8
	.type	_Z30fast_hadamard_transform_kernelI37fast_hadamard_transform_kernel_traitsILi256ELi12EfEEv18HadamardParamsBase,@function
_Z30fast_hadamard_transform_kernelI37fast_hadamard_transform_kernel_traitsILi256ELi12EfEEv18HadamardParamsBase: ; @_Z30fast_hadamard_transform_kernelI37fast_hadamard_transform_kernel_traitsILi256ELi12EfEEv18HadamardParamsBase
; %bb.0:
	s_clause 0x3
	s_load_b128 s[16:19], s[0:1], 0x10
	s_load_b32 s4, s[0:1], 0x4
	s_load_b128 s[8:11], s[0:1], 0x28
	s_load_b32 s2, s[0:1], 0x44
	s_ashr_i32 s12, s15, 31
	v_dual_mov_b32 v5, 0 :: v_dual_lshlrev_b32 v2, 2, v0
	v_dual_mov_b32 v1, 0 :: v_dual_mov_b32 v6, 0
	v_dual_mov_b32 v7, 0 :: v_dual_mov_b32 v8, 0
	v_lshlrev_b32_e32 v17, 4, v0
	s_waitcnt lgkmcnt(0)
	s_mul_hi_u32 s3, s16, s15
	s_mul_i32 s5, s16, s12
	s_mul_i32 s7, s17, s15
	s_add_i32 s3, s3, s5
	s_mul_i32 s6, s16, s15
	s_add_i32 s7, s3, s7
	v_cmp_gt_u32_e32 vcc_lo, s4, v2
	s_lshl_b64 s[6:7], s[6:7], 2
	s_delay_alu instid0(SALU_CYCLE_1)
	s_add_u32 s6, s8, s6
	s_addc_u32 s7, s9, s7
	s_and_saveexec_b32 s3, vcc_lo
	s_cbranch_execz .LBB9_2
; %bb.1:
	global_load_b128 v[5:8], v17, s[6:7]
.LBB9_2:
	s_or_b32 exec_lo, exec_lo, s3
	s_and_b32 s5, 0xffff, s2
	s_delay_alu instid0(SALU_CYCLE_1) | instskip(NEXT) | instid1(VALU_DEP_1)
	v_dual_mov_b32 v2, 0 :: v_dual_add_nc_u32 v9, s5, v0
	v_dual_mov_b32 v3, 0 :: v_dual_lshlrev_b32 v4, 2, v9
	v_lshlrev_b32_e32 v18, 4, v9
	s_delay_alu instid0(VALU_DEP_2) | instskip(SKIP_1) | instid1(VALU_DEP_2)
	v_cmp_gt_u32_e64 s2, s4, v4
	v_mov_b32_e32 v4, 0
	s_and_saveexec_b32 s3, s2
	s_cbranch_execz .LBB9_4
; %bb.3:
	global_load_b128 v[1:4], v18, s[6:7]
.LBB9_4:
	s_or_b32 exec_lo, exec_lo, s3
	v_dual_mov_b32 v9, 0 :: v_dual_add_nc_u32 v10, s5, v9
	v_dual_mov_b32 v13, 0 :: v_dual_mov_b32 v16, 0
	v_mov_b32_e32 v15, 0
	s_delay_alu instid0(VALU_DEP_3) | instskip(SKIP_1) | instid1(VALU_DEP_2)
	v_dual_mov_b32 v14, 0 :: v_dual_lshlrev_b32 v11, 2, v10
	v_lshlrev_b32_e32 v19, 4, v10
	v_cmp_gt_u32_e64 s3, s4, v11
	s_delay_alu instid0(VALU_DEP_1)
	s_and_saveexec_b32 s8, s3
	s_cbranch_execz .LBB9_6
; %bb.5:
	global_load_b128 v[13:16], v19, s[6:7]
.LBB9_6:
	s_or_b32 exec_lo, exec_lo, s8
	v_dual_mov_b32 v11, 0 :: v_dual_add_nc_u32 v12, s5, v10
	s_delay_alu instid0(VALU_DEP_1) | instskip(SKIP_2) | instid1(VALU_DEP_3)
	v_dual_mov_b32 v10, 0 :: v_dual_lshlrev_b32 v21, 2, v12
	v_lshlrev_b32_e32 v20, 4, v12
	v_mov_b32_e32 v12, 0
	v_cmp_gt_u32_e64 s4, s4, v21
	s_delay_alu instid0(VALU_DEP_1)
	s_and_saveexec_b32 s5, s4
	s_cbranch_execz .LBB9_8
; %bb.7:
	global_load_b128 v[9:12], v20, s[6:7]
.LBB9_8:
	s_or_b32 exec_lo, exec_lo, s5
	s_waitcnt vmcnt(0)
	v_add_f32_e32 v21, v5, v6
	v_sub_f32_e32 v5, v5, v6
	v_add_f32_e32 v6, v1, v2
	v_sub_f32_e32 v2, v1, v2
	;; [unrolled: 2-line block ×3, first 2 shown]
	v_dual_add_f32 v14, v9, v10 :: v_dual_add_f32 v1, v7, v8
	v_sub_f32_e32 v7, v7, v8
	v_dual_add_f32 v8, v3, v4 :: v_dual_sub_f32 v9, v9, v10
	v_mbcnt_lo_u32_b32 v10, -1, 0
	v_sub_f32_e32 v3, v3, v4
	v_add_f32_e32 v4, v15, v16
	s_delay_alu instid0(VALU_DEP_4)
	v_add_f32_e32 v24, v6, v8
	v_sub_f32_e32 v15, v15, v16
	v_xor_b32_e32 v23, 1, v10
	v_add_f32_e32 v16, v11, v12
	v_dual_sub_f32 v11, v11, v12 :: v_dual_add_f32 v12, v21, v1
	v_dual_sub_f32 v21, v21, v1 :: v_dual_sub_f32 v6, v6, v8
	s_delay_alu instid0(VALU_DEP_4) | instskip(NEXT) | instid1(VALU_DEP_3)
	v_cmp_gt_i32_e64 s5, 32, v23
	v_add_f32_e32 v31, v9, v11
	s_barrier
	buffer_gl0_inv
	v_cndmask_b32_e64 v23, v10, v23, s5
	v_add_f32_e32 v8, v22, v4
	v_sub_f32_e32 v4, v22, v4
	v_add_f32_e32 v22, v14, v16
	s_delay_alu instid0(VALU_DEP_4)
	v_dual_sub_f32 v14, v14, v16 :: v_dual_lshlrev_b32 v1, 2, v23
	v_add_f32_e32 v23, v5, v7
	v_sub_f32_e32 v5, v5, v7
	v_and_b32_e32 v7, 1, v0
	ds_bpermute_b32 v16, v1, v12
	ds_bpermute_b32 v26, v1, v21
	v_add_f32_e32 v27, v2, v3
	v_sub_f32_e32 v2, v2, v3
	v_cmp_eq_u32_e64 s5, 0, v7
	v_add_f32_e32 v3, v13, v15
	ds_bpermute_b32 v29, v1, v6
	ds_bpermute_b32 v25, v1, v23
	;; [unrolled: 1-line block ×3, first 2 shown]
	v_cndmask_b32_e64 v7, -v12, v12, s5
	v_cndmask_b32_e64 v21, -v21, v21, s5
	ds_bpermute_b32 v12, v1, v5
	v_cndmask_b32_e64 v6, -v6, v6, s5
	v_sub_f32_e32 v13, v13, v15
	ds_bpermute_b32 v15, v1, v24
	v_cndmask_b32_e64 v5, -v5, v5, s5
	v_cndmask_b32_e64 v23, -v23, v23, s5
	;; [unrolled: 1-line block ×3, first 2 shown]
	s_waitcnt lgkmcnt(5)
	v_dual_add_f32 v7, v7, v16 :: v_dual_add_f32 v16, v21, v26
	ds_bpermute_b32 v28, v1, v27
	v_cndmask_b32_e64 v21, -v24, v24, s5
	v_cndmask_b32_e64 v26, -v27, v27, s5
	ds_bpermute_b32 v27, v1, v22
	v_cndmask_b32_e64 v22, -v22, v22, s5
	ds_bpermute_b32 v24, v1, v3
	v_cndmask_b32_e64 v3, -v3, v3, s5
	s_waitcnt lgkmcnt(4)
	v_dual_add_f32 v6, v6, v29 :: v_dual_add_f32 v5, v5, v12
	s_waitcnt lgkmcnt(2)
	v_dual_add_f32 v12, v21, v15 :: v_dual_add_f32 v15, v26, v28
	v_xor_b32_e32 v26, 2, v10
	s_waitcnt lgkmcnt(1)
	v_add_f32_e32 v22, v22, v27
	s_delay_alu instid0(VALU_DEP_2) | instskip(NEXT) | instid1(VALU_DEP_1)
	v_cmp_gt_i32_e64 s6, 32, v26
	v_cndmask_b32_e64 v26, v10, v26, s6
	v_sub_f32_e32 v9, v9, v11
	v_add_f32_e32 v11, v23, v25
	ds_bpermute_b32 v25, v1, v4
	ds_bpermute_b32 v23, v1, v8
	v_cndmask_b32_e64 v4, -v4, v4, s5
	s_waitcnt lgkmcnt(1)
	s_delay_alu instid0(VALU_DEP_1)
	v_add_f32_e32 v4, v4, v25
	ds_bpermute_b32 v28, v1, v31
	ds_bpermute_b32 v25, v1, v14
	v_cndmask_b32_e64 v14, -v14, v14, s5
	v_add_f32_e32 v3, v3, v24
	v_cndmask_b32_e64 v24, -v31, v31, s5
	v_add_f32_e32 v21, v2, v30
	v_cndmask_b32_e64 v2, -v8, v8, s5
	ds_bpermute_b32 v8, v1, v13
	v_cndmask_b32_e64 v13, -v13, v13, s5
	s_waitcnt lgkmcnt(3)
	v_dual_add_f32 v23, v2, v23 :: v_dual_lshlrev_b32 v2, 2, v26
	ds_bpermute_b32 v26, v1, v9
	v_cndmask_b32_e64 v9, -v9, v9, s5
	ds_bpermute_b32 v29, v2, v7
	ds_bpermute_b32 v31, v2, v16
	;; [unrolled: 1-line block ×3, first 2 shown]
	s_waitcnt lgkmcnt(6)
	v_add_f32_e32 v24, v24, v28
	ds_bpermute_b32 v33, v2, v21
	ds_bpermute_b32 v32, v2, v6
	s_waitcnt lgkmcnt(7)
	v_add_f32_e32 v14, v14, v25
	s_waitcnt lgkmcnt(6)
	v_add_f32_e32 v8, v13, v8
	v_and_b32_e32 v13, 2, v0
	ds_bpermute_b32 v30, v2, v11
	v_cmp_eq_u32_e64 s6, 0, v13
	ds_bpermute_b32 v13, v2, v5
	v_cndmask_b32_e64 v7, -v7, v7, s6
	v_cndmask_b32_e64 v16, -v16, v16, s6
	;; [unrolled: 1-line block ×5, first 2 shown]
	s_waitcnt lgkmcnt(6)
	v_add_f32_e32 v7, v7, v29
	ds_bpermute_b32 v29, v2, v4
	s_waitcnt lgkmcnt(6)
	v_add_f32_e32 v16, v16, v31
	ds_bpermute_b32 v28, v2, v15
	v_cndmask_b32_e64 v4, -v4, v4, s6
	s_waitcnt lgkmcnt(4)
	v_dual_add_f32 v9, v9, v26 :: v_dual_add_f32 v6, v6, v32
	ds_bpermute_b32 v26, v2, v3
	v_cndmask_b32_e64 v15, -v15, v15, s6
	v_cndmask_b32_e64 v21, -v21, v21, s6
	s_waitcnt lgkmcnt(3)
	v_dual_add_f32 v12, v12, v27 :: v_dual_add_f32 v5, v5, v13
	v_xor_b32_e32 v27, 4, v10
	v_cndmask_b32_e64 v3, -v3, v3, s6
	v_cndmask_b32_e64 v11, -v11, v11, s6
	s_delay_alu instid0(VALU_DEP_3)
	v_cmp_gt_i32_e64 s7, 32, v27
	s_waitcnt lgkmcnt(2)
	v_add_f32_e32 v4, v4, v29
	ds_bpermute_b32 v25, v2, v23
	s_waitcnt lgkmcnt(2)
	v_add_f32_e32 v13, v15, v28
	v_add_f32_e32 v15, v21, v33
	v_cndmask_b32_e64 v21, -v23, v23, s6
	ds_bpermute_b32 v23, v2, v8
	v_cndmask_b32_e64 v27, v10, v27, s7
	v_cndmask_b32_e64 v8, -v8, v8, s6
	ds_bpermute_b32 v28, v2, v22
	v_cndmask_b32_e64 v22, -v22, v22, s6
	v_add_f32_e32 v11, v11, v30
	ds_bpermute_b32 v30, v2, v24
	v_cndmask_b32_e64 v24, -v24, v24, s6
	s_waitcnt lgkmcnt(3)
	v_add_f32_e32 v21, v21, v25
	v_add_f32_e32 v25, v3, v26
	v_lshlrev_b32_e32 v3, 2, v27
	ds_bpermute_b32 v26, v2, v14
	s_waitcnt lgkmcnt(3)
	v_dual_add_f32 v8, v8, v23 :: v_dual_and_b32 v23, 4, v0
	v_cndmask_b32_e64 v14, -v14, v14, s6
	ds_bpermute_b32 v29, v3, v7
	s_waitcnt lgkmcnt(3)
	v_add_f32_e32 v22, v22, v28
	ds_bpermute_b32 v27, v2, v9
	v_cmp_eq_u32_e64 s7, 0, v23
	s_waitcnt lgkmcnt(3)
	v_add_f32_e32 v24, v24, v30
	v_cndmask_b32_e64 v9, -v9, v9, s6
	s_delay_alu instid0(VALU_DEP_3) | instskip(SKIP_1) | instid1(VALU_DEP_1)
	v_cndmask_b32_e64 v7, -v7, v7, s7
	s_waitcnt lgkmcnt(1)
	v_dual_add_f32 v14, v14, v26 :: v_dual_add_f32 v7, v7, v29
	ds_bpermute_b32 v29, v3, v4
	v_cndmask_b32_e64 v4, -v4, v4, s7
	s_waitcnt lgkmcnt(0)
	s_delay_alu instid0(VALU_DEP_1)
	v_add_f32_e32 v4, v4, v29
	ds_bpermute_b32 v28, v3, v12
	ds_bpermute_b32 v30, v3, v13
	;; [unrolled: 1-line block ×5, first 2 shown]
	v_cndmask_b32_e64 v12, -v12, v12, s7
	v_cndmask_b32_e64 v13, -v13, v13, s7
	ds_bpermute_b32 v31, v3, v11
	v_cndmask_b32_e64 v16, -v16, v16, s7
	v_cndmask_b32_e64 v5, -v5, v5, s7
	;; [unrolled: 1-line block ×4, first 2 shown]
	s_waitcnt lgkmcnt(4)
	v_dual_add_f32 v12, v12, v28 :: v_dual_add_f32 v13, v13, v30
	ds_bpermute_b32 v28, v3, v22
	v_xor_b32_e32 v30, 8, v10
	ds_bpermute_b32 v26, v3, v21
	s_waitcnt lgkmcnt(5)
	v_add_f32_e32 v16, v16, v32
	ds_bpermute_b32 v34, v3, v15
	s_waitcnt lgkmcnt(5)
	v_add_f32_e32 v5, v5, v23
	v_cmp_gt_i32_e64 s8, 32, v30
	s_waitcnt lgkmcnt(4)
	v_add_f32_e32 v6, v6, v33
	ds_bpermute_b32 v23, v3, v8
	v_cndmask_b32_e64 v22, -v22, v22, s7
	s_waitcnt lgkmcnt(4)
	v_add_f32_e32 v11, v11, v31
	v_cndmask_b32_e64 v30, v10, v30, s8
	v_add_f32_e32 v9, v9, v27
	ds_bpermute_b32 v27, v3, v25
	v_cndmask_b32_e64 v21, -v21, v21, s7
	v_cndmask_b32_e64 v15, -v15, v15, s7
	;; [unrolled: 1-line block ×4, first 2 shown]
	ds_bpermute_b32 v31, v3, v24
	v_cndmask_b32_e64 v24, -v24, v24, s7
	s_waitcnt lgkmcnt(5)
	v_add_f32_e32 v22, v22, v28
	s_waitcnt lgkmcnt(4)
	v_dual_add_f32 v21, v21, v26 :: v_dual_and_b32 v28, 8, v0
	v_lshlrev_b32_e32 v26, 2, v30
	ds_bpermute_b32 v29, v3, v9
	v_cndmask_b32_e64 v9, -v9, v9, s7
	v_cmp_eq_u32_e64 s8, 0, v28
	s_waitcnt lgkmcnt(3)
	v_add_f32_e32 v8, v8, v23
	ds_bpermute_b32 v23, v26, v16
	ds_bpermute_b32 v33, v26, v12
	v_cndmask_b32_e64 v16, -v16, v16, s8
	v_add_f32_e32 v15, v15, v34
	ds_bpermute_b32 v34, v26, v6
	v_cndmask_b32_e64 v6, -v6, v6, s8
	s_waitcnt lgkmcnt(5)
	v_add_f32_e32 v25, v25, v27
	ds_bpermute_b32 v27, v3, v14
	v_cndmask_b32_e64 v14, -v14, v14, s7
	ds_bpermute_b32 v30, v26, v7
	s_waitcnt lgkmcnt(6)
	v_add_f32_e32 v24, v24, v31
	ds_bpermute_b32 v31, v26, v5
	v_cndmask_b32_e64 v12, -v12, v12, s8
	v_cndmask_b32_e64 v7, -v7, v7, s8
	ds_bpermute_b32 v32, v26, v11
	v_cndmask_b32_e64 v5, -v5, v5, s8
	s_waitcnt lgkmcnt(7)
	v_add_f32_e32 v9, v9, v29
	v_cndmask_b32_e64 v11, -v11, v11, s8
	s_waitcnt lgkmcnt(6)
	v_add_f32_e32 v16, v16, v23
	ds_bpermute_b32 v35, v26, v15
	s_waitcnt lgkmcnt(6)
	v_add_f32_e32 v12, v12, v33
	v_cndmask_b32_e64 v15, -v15, v15, s8
	s_waitcnt lgkmcnt(4)
	v_add_f32_e32 v14, v14, v27
	ds_bpermute_b32 v28, v26, v13
	v_cndmask_b32_e64 v13, -v13, v13, s8
	ds_bpermute_b32 v27, v26, v21
	s_waitcnt lgkmcnt(5)
	v_add_f32_e32 v7, v7, v30
	v_xor_b32_e32 v30, 16, v10
	s_delay_alu instid0(VALU_DEP_1)
	v_cmp_gt_i32_e64 s9, 32, v30
	s_waitcnt lgkmcnt(2)
	v_add_f32_e32 v15, v15, v35
	s_waitcnt lgkmcnt(1)
	v_dual_add_f32 v13, v13, v28 :: v_dual_add_f32 v28, v6, v34
	ds_bpermute_b32 v6, v26, v4
	v_cndmask_b32_e64 v4, -v4, v4, s8
	ds_bpermute_b32 v23, v26, v25
	v_cndmask_b32_e64 v25, -v25, v25, s8
	s_waitcnt lgkmcnt(1)
	v_add_f32_e32 v35, v4, v6
	v_cndmask_b32_e64 v4, -v14, v14, s8
	v_add_f32_e32 v29, v5, v31
	v_cndmask_b32_e64 v5, -v21, v21, s8
	ds_bpermute_b32 v31, v26, v22
	ds_bpermute_b32 v21, v26, v8
	v_cndmask_b32_e64 v8, -v8, v8, s8
	v_add_f32_e32 v27, v5, v27
	v_cndmask_b32_e64 v5, v10, v30, s9
	v_cndmask_b32_e64 v10, -v22, v22, s8
	s_delay_alu instid0(VALU_DEP_2)
	v_lshlrev_b32_e32 v22, 2, v5
	v_cndmask_b32_e64 v5, -v24, v24, s8
	ds_bpermute_b32 v30, v22, v7
	v_add_f32_e32 v11, v11, v32
	ds_bpermute_b32 v32, v26, v24
	ds_bpermute_b32 v24, v26, v14
	;; [unrolled: 1-line block ×3, first 2 shown]
	s_waitcnt lgkmcnt(6)
	v_add_f32_e32 v23, v25, v23
	ds_bpermute_b32 v25, v26, v9
	v_and_b32_e32 v26, 16, v0
	ds_bpermute_b32 v34, v22, v16
	s_waitcnt lgkmcnt(7)
	v_add_f32_e32 v31, v10, v31
	ds_bpermute_b32 v10, v22, v12
	v_cmp_eq_u32_e64 s9, 0, v26
	s_delay_alu instid0(VALU_DEP_1)
	v_cndmask_b32_e64 v6, -v7, v7, s9
	v_cndmask_b32_e64 v28, -v28, v28, s9
	s_waitcnt lgkmcnt(5)
	v_add_f32_e32 v26, v5, v32
	s_waitcnt lgkmcnt(4)
	v_add_f32_e32 v24, v4, v24
	v_add_f32_e32 v4, v6, v30
	ds_bpermute_b32 v33, v22, v11
	v_cndmask_b32_e64 v5, -v9, v9, s8
	ds_bpermute_b32 v30, v22, v35
	v_add_f32_e32 v21, v8, v21
	v_cndmask_b32_e64 v8, -v16, v16, s9
	v_cndmask_b32_e64 v7, -v11, v11, s9
	ds_bpermute_b32 v9, v22, v29
	ds_bpermute_b32 v16, v22, v15
	s_waitcnt lgkmcnt(5)
	v_dual_add_f32 v25, v5, v25 :: v_dual_add_f32 v6, v8, v34
	ds_bpermute_b32 v11, v22, v13
	v_cndmask_b32_e64 v8, -v12, v12, s9
	v_cndmask_b32_e64 v12, -v13, v13, s9
	v_cndmask_b32_e64 v15, -v15, v15, s9
	s_waitcnt lgkmcnt(5)
	s_delay_alu instid0(VALU_DEP_3)
	v_add_f32_e32 v8, v8, v10
	ds_bpermute_b32 v13, v22, v27
	v_add_f32_e32 v10, v28, v14
	ds_bpermute_b32 v28, v22, v25
	s_waitcnt lgkmcnt(6)
	v_add_f32_e32 v5, v7, v33
	v_cndmask_b32_e64 v7, -v29, v29, s9
	ds_bpermute_b32 v29, v22, v23
	v_cndmask_b32_e64 v14, -v23, v23, s9
	v_lshrrev_b32_e32 v23, 5, v0
	s_waitcnt lgkmcnt(5)
	v_add_f32_e32 v7, v7, v9
	s_waitcnt lgkmcnt(3)
	v_add_f32_e32 v9, v12, v11
	v_add_f32_e32 v11, v15, v16
	v_cndmask_b32_e64 v12, -v27, v27, s9
	v_cndmask_b32_e64 v15, -v35, v35, s9
	ds_bpermute_b32 v16, v22, v26
	ds_bpermute_b32 v27, v22, v24
	v_cndmask_b32_e64 v24, -v24, v24, s9
	s_waitcnt lgkmcnt(4)
	v_add_f32_e32 v12, v12, v13
	ds_bpermute_b32 v33, v22, v31
	s_waitcnt lgkmcnt(3)
	v_dual_add_f32 v13, v14, v29 :: v_dual_add_f32 v14, v15, v30
	ds_bpermute_b32 v32, v22, v21
	v_cndmask_b32_e64 v21, -v21, v21, s9
	v_cndmask_b32_e64 v22, -v31, v31, s9
	v_lshrrev_b32_e32 v29, 3, v0
	s_waitcnt lgkmcnt(0)
	s_delay_alu instid0(VALU_DEP_3) | instskip(NEXT) | instid1(VALU_DEP_3)
	v_add_f32_e32 v15, v21, v32
	v_add_f32_e32 v21, v22, v33
	v_cndmask_b32_e64 v22, -v26, v26, s9
	v_and_b32_e32 v26, 7, v0
	v_xor_b32_e32 v0, v23, v0
	s_delay_alu instid0(VALU_DEP_3) | instskip(SKIP_1) | instid1(VALU_DEP_4)
	v_dual_add_f32 v23, v24, v27 :: v_dual_add_f32 v22, v22, v16
	v_cndmask_b32_e64 v25, -v25, v25, s9
	v_lshl_or_b32 v16, v26, 5, v29
	s_delay_alu instid0(VALU_DEP_2) | instskip(SKIP_1) | instid1(VALU_DEP_3)
	v_add_f32_e32 v24, v25, v28
	v_lshl_add_u32 v25, v0, 4, 0
	v_xor_b32_e32 v0, v16, v26
	ds_store_b128 v25, v[4:7]
	ds_store_b128 v25, v[8:11] offset:4096
	v_lshl_add_u32 v16, v0, 4, 0
	ds_store_b128 v25, v[12:15] offset:8192
	ds_store_b128 v25, v[21:24] offset:12288
	s_waitcnt lgkmcnt(0)
	s_barrier
	buffer_gl0_inv
	ds_load_b128 v[4:7], v16
	ds_load_b128 v[8:11], v16 offset:4096
	ds_load_b128 v[12:15], v16 offset:8192
	;; [unrolled: 1-line block ×3, first 2 shown]
	s_waitcnt lgkmcnt(0)
	s_barrier
	buffer_gl0_inv
	ds_bpermute_b32 v0, v1, v4
	ds_bpermute_b32 v26, v1, v5
	;; [unrolled: 1-line block ×3, first 2 shown]
	v_cndmask_b32_e64 v4, -v4, v4, s5
	v_cndmask_b32_e64 v5, -v5, v5, s5
	;; [unrolled: 1-line block ×3, first 2 shown]
	ds_bpermute_b32 v29, v1, v8
	ds_bpermute_b32 v28, v1, v7
	ds_bpermute_b32 v30, v1, v9
	ds_bpermute_b32 v31, v1, v10
	ds_bpermute_b32 v32, v1, v11
	ds_bpermute_b32 v33, v1, v15
	ds_bpermute_b32 v34, v1, v21
	v_cndmask_b32_e64 v15, -v15, v15, s5
	v_cndmask_b32_e64 v21, -v21, v21, s5
	s_waitcnt lgkmcnt(9)
	v_add_f32_e32 v0, v4, v0
	s_waitcnt lgkmcnt(7)
	v_dual_add_f32 v4, v5, v26 :: v_dual_add_f32 v5, v6, v27
	v_cndmask_b32_e64 v6, -v7, v7, s5
	v_cndmask_b32_e64 v7, -v8, v8, s5
	v_cndmask_b32_e64 v8, -v9, v9, s5
	v_cndmask_b32_e64 v9, -v10, v10, s5
	v_cndmask_b32_e64 v10, -v11, v11, s5
	ds_bpermute_b32 v11, v1, v12
	ds_bpermute_b32 v26, v1, v13
	;; [unrolled: 1-line block ×3, first 2 shown]
	s_waitcnt lgkmcnt(5)
	v_dual_add_f32 v7, v7, v29 :: v_dual_add_f32 v10, v10, v32
	v_cndmask_b32_e64 v12, -v12, v12, s5
	v_cndmask_b32_e64 v13, -v13, v13, s5
	;; [unrolled: 1-line block ×3, first 2 shown]
	v_add_f32_e32 v6, v6, v28
	ds_bpermute_b32 v28, v1, v22
	ds_bpermute_b32 v29, v1, v23
	;; [unrolled: 1-line block ×3, first 2 shown]
	v_add_f32_e32 v8, v8, v30
	ds_bpermute_b32 v30, v2, v0
	v_cndmask_b32_e64 v0, -v0, v0, s6
	ds_bpermute_b32 v32, v2, v8
	s_waitcnt lgkmcnt(6)
	v_dual_add_f32 v11, v12, v11 :: v_dual_add_f32 v12, v13, v26
	s_waitcnt lgkmcnt(5)
	v_dual_add_f32 v13, v14, v27 :: v_dual_add_f32 v14, v15, v33
	ds_bpermute_b32 v27, v2, v7
	v_add_f32_e32 v15, v21, v34
	v_cndmask_b32_e64 v21, -v22, v22, s5
	v_cndmask_b32_e64 v22, -v23, v23, s5
	;; [unrolled: 1-line block ×3, first 2 shown]
	ds_bpermute_b32 v24, v2, v5
	v_add_f32_e32 v9, v9, v31
	ds_bpermute_b32 v31, v2, v4
	v_cndmask_b32_e64 v4, -v4, v4, s6
	s_waitcnt lgkmcnt(5)
	v_add_f32_e32 v1, v23, v1
	ds_bpermute_b32 v26, v2, v6
	s_waitcnt lgkmcnt(5)
	v_add_f32_e32 v0, v0, v30
	v_add_f32_e32 v22, v22, v29
	ds_bpermute_b32 v29, v2, v12
	s_load_b32 s5, s[0:1], 0x20
	s_mul_i32 s0, s18, s12
	s_mul_hi_u32 s1, s18, s15
	s_delay_alu instid0(SALU_CYCLE_1) | instskip(SKIP_1) | instid1(SALU_CYCLE_1)
	s_add_i32 s0, s1, s0
	s_mul_i32 s1, s19, s15
	s_add_i32 s1, s0, s1
	s_mul_i32 s0, s18, s15
	s_delay_alu instid0(SALU_CYCLE_1) | instskip(NEXT) | instid1(SALU_CYCLE_1)
	s_lshl_b64 s[0:1], s[0:1], 2
	s_add_u32 s0, s10, s0
	s_waitcnt lgkmcnt(0)
	v_add_f32_e32 v23, v4, v31
	v_cndmask_b32_e64 v4, -v5, v5, s6
	v_cndmask_b32_e64 v5, -v6, v6, s6
	;; [unrolled: 1-line block ×4, first 2 shown]
	ds_bpermute_b32 v31, v2, v14
	v_add_f32_e32 v24, v4, v24
	ds_bpermute_b32 v33, v2, v9
	v_cndmask_b32_e64 v8, -v9, v9, s6
	ds_bpermute_b32 v9, v2, v10
	v_add_f32_e32 v6, v6, v27
	v_cndmask_b32_e64 v4, -v10, v10, s6
	v_cndmask_b32_e64 v10, -v11, v11, s6
	v_add_f32_e32 v7, v7, v32
	ds_bpermute_b32 v27, v2, v22
	ds_bpermute_b32 v32, v3, v0
	v_cndmask_b32_e64 v0, -v0, v0, s7
	v_add_f32_e32 v5, v5, v26
	s_addc_u32 s1, s11, s1
	s_waitcnt lgkmcnt(3)
	v_add_f32_e32 v8, v8, v33
	ds_bpermute_b32 v30, v2, v13
	v_add_f32_e32 v21, v21, v28
	ds_bpermute_b32 v28, v2, v11
	v_cndmask_b32_e64 v11, -v12, v12, s6
	v_cndmask_b32_e64 v12, -v13, v13, s6
	;; [unrolled: 1-line block ×3, first 2 shown]
	ds_bpermute_b32 v14, v2, v15
	s_waitcnt lgkmcnt(2)
	v_add_f32_e32 v12, v12, v30
	ds_bpermute_b32 v26, v2, v21
	s_waitcnt lgkmcnt(2)
	v_add_f32_e32 v10, v10, v28
	ds_bpermute_b32 v28, v3, v24
	v_add_f32_e32 v9, v4, v9
	v_cndmask_b32_e64 v4, -v15, v15, s6
	v_cndmask_b32_e64 v15, -v21, v21, s6
	;; [unrolled: 1-line block ×3, first 2 shown]
	ds_bpermute_b32 v30, v3, v6
	ds_bpermute_b32 v33, v3, v10
	s_waitcnt lgkmcnt(4)
	v_add_f32_e32 v14, v4, v14
	ds_bpermute_b32 v2, v2, v1
	v_cndmask_b32_e64 v1, -v1, v1, s6
	v_add_f32_e32 v4, v0, v32
	ds_bpermute_b32 v35, v3, v12
	v_add_f32_e32 v11, v11, v29
	ds_bpermute_b32 v29, v3, v5
	;; [unrolled: 2-line block ×3, first 2 shown]
	s_waitcnt lgkmcnt(7)
	v_add_f32_e32 v15, v15, v26
	s_waitcnt lgkmcnt(3)
	v_add_f32_e32 v26, v1, v2
	ds_bpermute_b32 v22, v3, v23
	v_cndmask_b32_e64 v0, -v23, v23, s7
	v_cndmask_b32_e64 v23, -v6, v6, s7
	v_add_f32_e32 v13, v13, v31
	ds_bpermute_b32 v31, v3, v7
	v_cndmask_b32_e64 v2, -v5, v5, s7
	v_cndmask_b32_e64 v1, -v24, v24, s7
	;; [unrolled: 1-line block ×3, first 2 shown]
	s_delay_alu instid0(VALU_DEP_2)
	v_add_f32_e32 v6, v1, v28
	ds_bpermute_b32 v32, v3, v9
	ds_bpermute_b32 v28, v3, v21
	s_waitcnt lgkmcnt(3)
	v_add_f32_e32 v5, v0, v22
	v_add_f32_e32 v0, v23, v30
	ds_bpermute_b32 v23, v3, v14
	v_add_f32_e32 v7, v2, v29
	v_cndmask_b32_e64 v2, -v8, v8, s7
	v_cndmask_b32_e64 v8, -v10, v10, s7
	;; [unrolled: 1-line block ×3, first 2 shown]
	ds_bpermute_b32 v22, v3, v13
	s_waitcnt lgkmcnt(4)
	v_add_f32_e32 v1, v24, v31
	ds_bpermute_b32 v29, v3, v26
	v_add_f32_e32 v8, v8, v33
	v_add_f32_e32 v10, v10, v35
	ds_bpermute_b32 v34, v3, v11
	ds_bpermute_b32 v24, v3, v15
	v_cndmask_b32_e64 v3, -v9, v9, s7
	v_cndmask_b32_e64 v9, -v11, v11, s7
	;; [unrolled: 1-line block ×7, first 2 shown]
	s_waitcnt lgkmcnt(6)
	v_dual_add_f32 v2, v2, v27 :: v_dual_add_f32 v3, v3, v32
	s_waitcnt lgkmcnt(4)
	v_add_f32_e32 v12, v12, v23
	s_waitcnt lgkmcnt(3)
	v_dual_add_f32 v14, v14, v28 :: v_dual_add_f32 v11, v11, v22
	s_waitcnt lgkmcnt(2)
	v_add_f32_e32 v15, v15, v29
	s_waitcnt lgkmcnt(1)
	v_add_f32_e32 v9, v9, v34
	;; [unrolled: 2-line block ×3, first 2 shown]
	ds_store_b128 v16, v[4:7]
	ds_store_b128 v16, v[0:3] offset:4096
	ds_store_b128 v16, v[8:11] offset:8192
	;; [unrolled: 1-line block ×3, first 2 shown]
	s_waitcnt lgkmcnt(0)
	s_barrier
	buffer_gl0_inv
	ds_load_b128 v[8:11], v25
	ds_load_b128 v[12:15], v25 offset:4096
	ds_load_b128 v[0:3], v25 offset:8192
	;; [unrolled: 1-line block ×3, first 2 shown]
	s_waitcnt lgkmcnt(2)
	v_dual_add_f32 v16, v8, v12 :: v_dual_add_f32 v21, v9, v13
	v_dual_add_f32 v22, v10, v14 :: v_dual_add_f32 v23, v11, v15
	s_waitcnt lgkmcnt(0)
	v_dual_add_f32 v24, v0, v4 :: v_dual_add_f32 v25, v1, v5
	v_dual_add_f32 v26, v2, v6 :: v_dual_add_f32 v27, v3, v7
	s_and_saveexec_b32 s6, vcc_lo
	s_cbranch_execz .LBB9_10
; %bb.9:
	s_delay_alu instid0(VALU_DEP_1) | instskip(SKIP_1) | instid1(VALU_DEP_2)
	v_dual_add_f32 v28, v23, v27 :: v_dual_add_f32 v29, v22, v26
	v_dual_add_f32 v32, v21, v25 :: v_dual_add_f32 v33, v16, v24
	v_dual_mul_f32 v31, s5, v28 :: v_dual_mul_f32 v30, s5, v29
	s_delay_alu instid0(VALU_DEP_2)
	v_dual_mul_f32 v29, s5, v32 :: v_dual_mul_f32 v28, s5, v33
	global_store_b128 v17, v[28:31], s[0:1]
.LBB9_10:
	s_or_b32 exec_lo, exec_lo, s6
	v_dual_sub_f32 v8, v8, v12 :: v_dual_sub_f32 v9, v9, v13
	v_dual_sub_f32 v10, v10, v14 :: v_dual_sub_f32 v11, v11, v15
	;; [unrolled: 1-line block ×4, first 2 shown]
	s_and_saveexec_b32 s6, s2
	s_cbranch_execnz .LBB9_14
; %bb.11:
	s_or_b32 exec_lo, exec_lo, s6
	s_and_saveexec_b32 s2, s3
	s_cbranch_execnz .LBB9_15
.LBB9_12:
	s_or_b32 exec_lo, exec_lo, s2
	s_and_saveexec_b32 s2, s4
	s_cbranch_execnz .LBB9_16
.LBB9_13:
	s_nop 0
	s_sendmsg sendmsg(MSG_DEALLOC_VGPRS)
	s_endpgm
.LBB9_14:
	s_delay_alu instid0(VALU_DEP_2) | instskip(NEXT) | instid1(VALU_DEP_2)
	v_dual_add_f32 v4, v8, v0 :: v_dual_add_f32 v5, v9, v1
	v_dual_add_f32 v6, v10, v2 :: v_dual_add_f32 v7, v11, v3
	s_delay_alu instid0(VALU_DEP_2) | instskip(NEXT) | instid1(VALU_DEP_2)
	v_dual_mul_f32 v4, s5, v4 :: v_dual_mul_f32 v5, s5, v5
	v_dual_mul_f32 v6, s5, v6 :: v_dual_mul_f32 v7, s5, v7
	global_store_b128 v18, v[4:7], s[0:1]
	s_or_b32 exec_lo, exec_lo, s6
	s_and_saveexec_b32 s2, s3
	s_cbranch_execz .LBB9_12
.LBB9_15:
	v_dual_sub_f32 v4, v16, v24 :: v_dual_sub_f32 v5, v21, v25
	v_dual_sub_f32 v6, v22, v26 :: v_dual_sub_f32 v7, v23, v27
	s_delay_alu instid0(VALU_DEP_2) | instskip(NEXT) | instid1(VALU_DEP_2)
	v_dual_mul_f32 v4, s5, v4 :: v_dual_mul_f32 v5, s5, v5
	v_dual_mul_f32 v6, s5, v6 :: v_dual_mul_f32 v7, s5, v7
	global_store_b128 v19, v[4:7], s[0:1]
	s_or_b32 exec_lo, exec_lo, s2
	s_and_saveexec_b32 s2, s4
	s_cbranch_execz .LBB9_13
.LBB9_16:
	v_dual_sub_f32 v0, v8, v0 :: v_dual_sub_f32 v1, v9, v1
	v_dual_sub_f32 v2, v10, v2 :: v_dual_sub_f32 v3, v11, v3
	s_delay_alu instid0(VALU_DEP_2) | instskip(NEXT) | instid1(VALU_DEP_2)
	v_dual_mul_f32 v0, s5, v0 :: v_dual_mul_f32 v1, s5, v1
	v_dual_mul_f32 v2, s5, v2 :: v_dual_mul_f32 v3, s5, v3
	global_store_b128 v20, v[0:3], s[0:1]
	s_nop 0
	s_sendmsg sendmsg(MSG_DEALLOC_VGPRS)
	s_endpgm
	.section	.rodata,"a",@progbits
	.p2align	6, 0x0
	.amdhsa_kernel _Z30fast_hadamard_transform_kernelI37fast_hadamard_transform_kernel_traitsILi256ELi12EfEEv18HadamardParamsBase
		.amdhsa_group_segment_fixed_size 0
		.amdhsa_private_segment_fixed_size 0
		.amdhsa_kernarg_size 312
		.amdhsa_user_sgpr_count 15
		.amdhsa_user_sgpr_dispatch_ptr 0
		.amdhsa_user_sgpr_queue_ptr 0
		.amdhsa_user_sgpr_kernarg_segment_ptr 1
		.amdhsa_user_sgpr_dispatch_id 0
		.amdhsa_user_sgpr_private_segment_size 0
		.amdhsa_wavefront_size32 1
		.amdhsa_uses_dynamic_stack 0
		.amdhsa_enable_private_segment 0
		.amdhsa_system_sgpr_workgroup_id_x 1
		.amdhsa_system_sgpr_workgroup_id_y 0
		.amdhsa_system_sgpr_workgroup_id_z 0
		.amdhsa_system_sgpr_workgroup_info 0
		.amdhsa_system_vgpr_workitem_id 0
		.amdhsa_next_free_vgpr 36
		.amdhsa_next_free_sgpr 20
		.amdhsa_reserve_vcc 1
		.amdhsa_float_round_mode_32 0
		.amdhsa_float_round_mode_16_64 0
		.amdhsa_float_denorm_mode_32 3
		.amdhsa_float_denorm_mode_16_64 3
		.amdhsa_dx10_clamp 1
		.amdhsa_ieee_mode 1
		.amdhsa_fp16_overflow 0
		.amdhsa_workgroup_processor_mode 1
		.amdhsa_memory_ordered 1
		.amdhsa_forward_progress 0
		.amdhsa_shared_vgpr_count 0
		.amdhsa_exception_fp_ieee_invalid_op 0
		.amdhsa_exception_fp_denorm_src 0
		.amdhsa_exception_fp_ieee_div_zero 0
		.amdhsa_exception_fp_ieee_overflow 0
		.amdhsa_exception_fp_ieee_underflow 0
		.amdhsa_exception_fp_ieee_inexact 0
		.amdhsa_exception_int_div_zero 0
	.end_amdhsa_kernel
	.section	.text._Z30fast_hadamard_transform_kernelI37fast_hadamard_transform_kernel_traitsILi256ELi12EfEEv18HadamardParamsBase,"axG",@progbits,_Z30fast_hadamard_transform_kernelI37fast_hadamard_transform_kernel_traitsILi256ELi12EfEEv18HadamardParamsBase,comdat
.Lfunc_end9:
	.size	_Z30fast_hadamard_transform_kernelI37fast_hadamard_transform_kernel_traitsILi256ELi12EfEEv18HadamardParamsBase, .Lfunc_end9-_Z30fast_hadamard_transform_kernelI37fast_hadamard_transform_kernel_traitsILi256ELi12EfEEv18HadamardParamsBase
                                        ; -- End function
	.section	.AMDGPU.csdata,"",@progbits
; Kernel info:
; codeLenInByte = 4200
; NumSgprs: 22
; NumVgprs: 36
; ScratchSize: 0
; MemoryBound: 0
; FloatMode: 240
; IeeeMode: 1
; LDSByteSize: 0 bytes/workgroup (compile time only)
; SGPRBlocks: 2
; VGPRBlocks: 4
; NumSGPRsForWavesPerEU: 22
; NumVGPRsForWavesPerEU: 36
; Occupancy: 16
; WaveLimiterHint : 0
; COMPUTE_PGM_RSRC2:SCRATCH_EN: 0
; COMPUTE_PGM_RSRC2:USER_SGPR: 15
; COMPUTE_PGM_RSRC2:TRAP_HANDLER: 0
; COMPUTE_PGM_RSRC2:TGID_X_EN: 1
; COMPUTE_PGM_RSRC2:TGID_Y_EN: 0
; COMPUTE_PGM_RSRC2:TGID_Z_EN: 0
; COMPUTE_PGM_RSRC2:TIDIG_COMP_CNT: 0
	.section	.text._Z30fast_hadamard_transform_kernelI37fast_hadamard_transform_kernel_traitsILi256ELi13EfEEv18HadamardParamsBase,"axG",@progbits,_Z30fast_hadamard_transform_kernelI37fast_hadamard_transform_kernel_traitsILi256ELi13EfEEv18HadamardParamsBase,comdat
	.protected	_Z30fast_hadamard_transform_kernelI37fast_hadamard_transform_kernel_traitsILi256ELi13EfEEv18HadamardParamsBase ; -- Begin function _Z30fast_hadamard_transform_kernelI37fast_hadamard_transform_kernel_traitsILi256ELi13EfEEv18HadamardParamsBase
	.globl	_Z30fast_hadamard_transform_kernelI37fast_hadamard_transform_kernel_traitsILi256ELi13EfEEv18HadamardParamsBase
	.p2align	8
	.type	_Z30fast_hadamard_transform_kernelI37fast_hadamard_transform_kernel_traitsILi256ELi13EfEEv18HadamardParamsBase,@function
_Z30fast_hadamard_transform_kernelI37fast_hadamard_transform_kernel_traitsILi256ELi13EfEEv18HadamardParamsBase: ; @_Z30fast_hadamard_transform_kernelI37fast_hadamard_transform_kernel_traitsILi256ELi13EfEEv18HadamardParamsBase
; %bb.0:
	s_clause 0x3
	s_load_b128 s[20:23], s[0:1], 0x10
	s_load_b32 s8, s[0:1], 0x4
	s_load_b128 s[16:19], s[0:1], 0x28
	s_load_b32 s2, s[0:1], 0x44
	s_ashr_i32 s14, s15, 31
	v_dual_mov_b32 v5, 0 :: v_dual_lshlrev_b32 v2, 2, v0
	v_dual_mov_b32 v1, 0 :: v_dual_mov_b32 v6, 0
	v_dual_mov_b32 v7, 0 :: v_dual_mov_b32 v8, 0
	v_lshlrev_b32_e32 v35, 4, v0
	s_waitcnt lgkmcnt(0)
	s_mul_hi_u32 s3, s20, s15
	s_mul_i32 s4, s20, s14
	s_mul_i32 s5, s21, s15
	s_add_i32 s3, s3, s4
	s_mul_i32 s6, s20, s15
	s_add_i32 s7, s3, s5
	v_cmp_gt_u32_e64 s4, s8, v2
	s_lshl_b64 s[6:7], s[6:7], 2
	s_delay_alu instid0(SALU_CYCLE_1) | instskip(SKIP_1) | instid1(VALU_DEP_1)
	s_add_u32 s10, s16, s6
	s_addc_u32 s11, s17, s7
	s_and_saveexec_b32 s3, s4
	s_cbranch_execz .LBB10_2
; %bb.1:
	global_load_b128 v[5:8], v35, s[10:11]
.LBB10_2:
	s_or_b32 exec_lo, exec_lo, s3
	s_and_b32 s9, 0xffff, s2
	s_delay_alu instid0(SALU_CYCLE_1) | instskip(NEXT) | instid1(VALU_DEP_1)
	v_dual_mov_b32 v2, 0 :: v_dual_add_nc_u32 v9, s9, v0
	v_dual_mov_b32 v3, 0 :: v_dual_lshlrev_b32 v4, 2, v9
	v_lshlrev_b32_e32 v33, 4, v9
	s_delay_alu instid0(VALU_DEP_2)
	v_cmp_gt_u32_e32 vcc_lo, s8, v4
	v_mov_b32_e32 v4, 0
	s_and_saveexec_b32 s2, vcc_lo
	s_cbranch_execz .LBB10_4
; %bb.3:
	global_load_b128 v[1:4], v33, s[10:11]
.LBB10_4:
	s_or_b32 exec_lo, exec_lo, s2
	v_dual_mov_b32 v9, 0 :: v_dual_add_nc_u32 v10, s9, v9
	v_mov_b32_e32 v13, 0
	v_dual_mov_b32 v15, 0 :: v_dual_mov_b32 v16, 0
	s_delay_alu instid0(VALU_DEP_3) | instskip(SKIP_1) | instid1(VALU_DEP_2)
	v_dual_mov_b32 v14, 0 :: v_dual_lshlrev_b32 v11, 2, v10
	v_lshlrev_b32_e32 v34, 4, v10
	v_cmp_gt_u32_e64 s2, s8, v11
	s_delay_alu instid0(VALU_DEP_1)
	s_and_saveexec_b32 s3, s2
	s_cbranch_execz .LBB10_6
; %bb.5:
	global_load_b128 v[13:16], v34, s[10:11]
.LBB10_6:
	s_or_b32 exec_lo, exec_lo, s3
	v_dual_mov_b32 v10, 0 :: v_dual_add_nc_u32 v17, s9, v10
	s_delay_alu instid0(VALU_DEP_1) | instskip(SKIP_1) | instid1(VALU_DEP_2)
	v_dual_mov_b32 v11, 0 :: v_dual_lshlrev_b32 v12, 2, v17
	v_lshlrev_b32_e32 v36, 4, v17
	v_cmp_gt_u32_e64 s3, s8, v12
	v_mov_b32_e32 v12, 0
	s_delay_alu instid0(VALU_DEP_2)
	s_and_saveexec_b32 s5, s3
	s_cbranch_execz .LBB10_8
; %bb.7:
	global_load_b128 v[9:12], v36, s[10:11]
.LBB10_8:
	s_or_b32 exec_lo, exec_lo, s5
	v_dual_mov_b32 v17, 0 :: v_dual_add_nc_u32 v18, s9, v17
	v_dual_mov_b32 v21, 0 :: v_dual_mov_b32 v24, 0
	v_mov_b32_e32 v23, 0
	s_delay_alu instid0(VALU_DEP_3) | instskip(SKIP_1) | instid1(VALU_DEP_2)
	v_dual_mov_b32 v22, 0 :: v_dual_lshlrev_b32 v19, 2, v18
	v_lshlrev_b32_e32 v37, 4, v18
	v_cmp_gt_u32_e64 s5, s8, v19
	s_delay_alu instid0(VALU_DEP_1)
	s_and_saveexec_b32 s6, s5
	s_cbranch_execz .LBB10_10
; %bb.9:
	global_load_b128 v[21:24], v37, s[10:11]
.LBB10_10:
	s_or_b32 exec_lo, exec_lo, s6
	v_dual_mov_b32 v18, 0 :: v_dual_add_nc_u32 v25, s9, v18
	s_delay_alu instid0(VALU_DEP_1) | instskip(SKIP_1) | instid1(VALU_DEP_2)
	v_dual_mov_b32 v19, 0 :: v_dual_lshlrev_b32 v20, 2, v25
	v_lshlrev_b32_e32 v38, 4, v25
	v_cmp_gt_u32_e64 s6, s8, v20
	v_mov_b32_e32 v20, 0
	s_delay_alu instid0(VALU_DEP_2)
	s_and_saveexec_b32 s7, s6
	s_cbranch_execz .LBB10_12
; %bb.11:
	global_load_b128 v[17:20], v38, s[10:11]
.LBB10_12:
	s_or_b32 exec_lo, exec_lo, s7
	v_dual_mov_b32 v25, 0 :: v_dual_add_nc_u32 v26, s9, v25
	v_dual_mov_b32 v29, 0 :: v_dual_mov_b32 v32, 0
	v_mov_b32_e32 v31, 0
	s_delay_alu instid0(VALU_DEP_3) | instskip(SKIP_1) | instid1(VALU_DEP_2)
	v_dual_mov_b32 v30, 0 :: v_dual_lshlrev_b32 v27, 2, v26
	v_lshlrev_b32_e32 v39, 4, v26
	v_cmp_gt_u32_e64 s7, s8, v27
	s_delay_alu instid0(VALU_DEP_1)
	s_and_saveexec_b32 s12, s7
	s_cbranch_execz .LBB10_14
; %bb.13:
	global_load_b128 v[29:32], v39, s[10:11]
.LBB10_14:
	s_or_b32 exec_lo, exec_lo, s12
	v_dual_mov_b32 v27, 0 :: v_dual_add_nc_u32 v28, s9, v26
	s_delay_alu instid0(VALU_DEP_1) | instskip(SKIP_2) | instid1(VALU_DEP_3)
	v_dual_mov_b32 v26, 0 :: v_dual_lshlrev_b32 v41, 2, v28
	v_lshlrev_b32_e32 v40, 4, v28
	v_mov_b32_e32 v28, 0
	v_cmp_gt_u32_e64 s8, s8, v41
	s_delay_alu instid0(VALU_DEP_1)
	s_and_saveexec_b32 s9, s8
	s_cbranch_execz .LBB10_16
; %bb.15:
	global_load_b128 v[25:28], v40, s[10:11]
.LBB10_16:
	s_or_b32 exec_lo, exec_lo, s9
	s_waitcnt vmcnt(0)
	v_add_f32_e32 v41, v5, v6
	v_sub_f32_e32 v5, v5, v6
	v_add_f32_e32 v6, v1, v2
	v_sub_f32_e32 v1, v1, v2
	;; [unrolled: 2-line block ×7, first 2 shown]
	v_add_f32_e32 v30, v25, v26
	v_dual_sub_f32 v25, v25, v26 :: v_dual_add_f32 v26, v7, v8
	v_sub_f32_e32 v7, v7, v8
	v_add_f32_e32 v8, v3, v4
	v_sub_f32_e32 v3, v3, v4
	v_add_f32_e32 v4, v15, v16
	;; [unrolled: 2-line block ×7, first 2 shown]
	v_dual_sub_f32 v27, v27, v28 :: v_dual_add_f32 v28, v41, v26
	v_dual_sub_f32 v26, v41, v26 :: v_dual_add_f32 v41, v6, v8
	v_sub_f32_e32 v6, v6, v8
	v_add_f32_e32 v8, v2, v4
	v_sub_f32_e32 v2, v2, v4
	v_mbcnt_lo_u32_b32 v4, -1, 0
	v_add_f32_e32 v42, v14, v16
	v_sub_f32_e32 v14, v14, v16
	v_add_f32_e32 v16, v10, v12
	v_sub_f32_e32 v10, v10, v12
	v_xor_b32_e32 v43, 1, v4
	v_add_f32_e32 v12, v22, v24
	v_sub_f32_e32 v22, v22, v24
	v_add_f32_e32 v24, v18, v20
	v_sub_f32_e32 v18, v18, v20
	v_cmp_gt_i32_e64 s9, 32, v43
	v_add_f32_e32 v20, v30, v32
	v_dual_sub_f32 v30, v30, v32 :: v_dual_add_f32 v49, v29, v31
	v_add_f32_e32 v32, v5, v7
	v_sub_f32_e32 v5, v5, v7
	v_add_f32_e32 v7, v1, v3
	v_sub_f32_e32 v3, v1, v3
	v_cndmask_b32_e64 v1, v4, v43, s9
	s_barrier
	buffer_gl0_inv
	v_lshlrev_b32_e32 v1, 2, v1
	ds_bpermute_b32 v43, v1, v28
	ds_bpermute_b32 v48, v1, v41
	v_add_f32_e32 v44, v13, v15
	v_sub_f32_e32 v13, v13, v15
	v_add_f32_e32 v15, v9, v11
	v_sub_f32_e32 v9, v9, v11
	;; [unrolled: 2-line block ×4, first 2 shown]
	v_and_b32_e32 v19, 1, v0
	ds_bpermute_b32 v45, v1, v32
	ds_bpermute_b32 v46, v1, v26
	;; [unrolled: 1-line block ×4, first 2 shown]
	v_cmp_eq_u32_e64 s9, 0, v19
	v_sub_f32_e32 v19, v29, v31
	ds_bpermute_b32 v51, v1, v8
	v_cndmask_b32_e64 v26, -v26, v26, s9
	v_add_f32_e32 v29, v25, v27
	v_cndmask_b32_e64 v31, -v41, v41, s9
	ds_bpermute_b32 v41, v1, v6
	v_cndmask_b32_e64 v6, -v6, v6, s9
	v_sub_f32_e32 v25, v25, v27
	v_cndmask_b32_e64 v27, -v28, v28, s9
	v_cndmask_b32_e64 v28, -v32, v32, s9
	ds_bpermute_b32 v32, v1, v7
	s_waitcnt lgkmcnt(7)
	v_add_f32_e32 v31, v31, v48
	ds_bpermute_b32 v52, v1, v44
	s_waitcnt lgkmcnt(7)
	v_dual_add_f32 v27, v27, v43 :: v_dual_add_f32 v28, v28, v45
	v_cndmask_b32_e64 v43, -v44, v44, s9
	ds_bpermute_b32 v44, v1, v2
	ds_bpermute_b32 v45, v1, v13
	v_cndmask_b32_e64 v5, -v5, v5, s9
	s_waitcnt lgkmcnt(8)
	v_add_f32_e32 v26, v26, v46
	v_cndmask_b32_e64 v7, -v7, v7, s9
	v_cndmask_b32_e64 v3, -v3, v3, s9
	ds_bpermute_b32 v46, v1, v42
	s_waitcnt lgkmcnt(8)
	v_add_f32_e32 v5, v5, v47
	ds_bpermute_b32 v47, v1, v15
	ds_bpermute_b32 v48, v1, v14
	s_waitcnt lgkmcnt(7)
	v_add_f32_e32 v6, v6, v41
	v_cndmask_b32_e64 v2, -v2, v2, s9
	v_cndmask_b32_e64 v13, -v13, v13, s9
	v_cndmask_b32_e64 v41, -v42, v42, s9
	ds_bpermute_b32 v42, v1, v9
	v_cndmask_b32_e64 v8, -v8, v8, s9
	s_waitcnt lgkmcnt(7)
	v_add_f32_e32 v7, v7, v32
	s_waitcnt lgkmcnt(6)
	v_add_f32_e32 v32, v43, v52
	v_cndmask_b32_e64 v14, -v14, v14, s9
	v_add_f32_e32 v3, v3, v50
	ds_bpermute_b32 v43, v1, v16
	ds_bpermute_b32 v50, v1, v11
	s_waitcnt lgkmcnt(7)
	v_add_f32_e32 v44, v2, v44
	v_cndmask_b32_e64 v2, -v9, v9, s9
	s_waitcnt lgkmcnt(6)
	v_add_f32_e32 v13, v13, v45
	ds_bpermute_b32 v45, v1, v23
	v_cndmask_b32_e64 v15, -v15, v15, s9
	v_cndmask_b32_e64 v9, -v16, v16, s9
	ds_bpermute_b32 v16, v1, v12
	v_add_f32_e32 v8, v8, v51
	ds_bpermute_b32 v51, v1, v10
	ds_bpermute_b32 v52, v1, v21
	s_waitcnt lgkmcnt(7)
	v_add_f32_e32 v14, v14, v48
	v_cndmask_b32_e64 v11, -v11, v11, s9
	s_waitcnt lgkmcnt(6)
	v_add_f32_e32 v42, v2, v42
	ds_bpermute_b32 v48, v1, v24
	v_cndmask_b32_e64 v10, -v10, v10, s9
	v_add_f32_e32 v41, v41, v46
	ds_bpermute_b32 v46, v1, v22
	v_cndmask_b32_e64 v2, -v12, v12, s9
	;; [unrolled: 3-line block ×3, first 2 shown]
	ds_bpermute_b32 v23, v1, v49
	s_waitcnt lgkmcnt(9)
	v_add_f32_e32 v9, v9, v43
	ds_bpermute_b32 v43, v1, v18
	v_cndmask_b32_e64 v24, -v24, v24, s9
	s_waitcnt lgkmcnt(8)
	v_dual_add_f32 v12, v12, v45 :: v_dual_add_f32 v11, v11, v50
	ds_bpermute_b32 v50, v1, v19
	v_xor_b32_e32 v45, 2, v4
	v_cndmask_b32_e64 v21, -v21, v21, s9
	v_cndmask_b32_e64 v22, -v22, v22, s9
	;; [unrolled: 1-line block ×3, first 2 shown]
	s_waitcnt lgkmcnt(8)
	v_add_f32_e32 v16, v2, v16
	s_waitcnt lgkmcnt(5)
	v_add_f32_e32 v24, v24, v48
	v_cmp_gt_i32_e64 s10, 32, v45
	v_cndmask_b32_e64 v2, -v49, v49, s9
	s_waitcnt lgkmcnt(4)
	v_dual_add_f32 v21, v21, v52 :: v_dual_add_f32 v22, v22, v46
	v_cndmask_b32_e64 v18, -v18, v18, s9
	v_cndmask_b32_e64 v45, v4, v45, s10
	s_waitcnt lgkmcnt(3)
	v_add_f32_e32 v17, v17, v47
	v_cndmask_b32_e64 v19, -v19, v19, s9
	ds_bpermute_b32 v46, v1, v20
	ds_bpermute_b32 v47, v1, v29
	;; [unrolled: 1-line block ×3, first 2 shown]
	v_cndmask_b32_e64 v20, -v20, v20, s9
	s_waitcnt lgkmcnt(5)
	v_dual_add_f32 v23, v2, v23 :: v_dual_lshlrev_b32 v2, 2, v45
	s_waitcnt lgkmcnt(3)
	v_dual_add_f32 v18, v18, v43 :: v_dual_add_f32 v19, v19, v50
	v_cndmask_b32_e64 v29, -v29, v29, s9
	v_cndmask_b32_e64 v30, -v30, v30, s9
	ds_bpermute_b32 v45, v2, v27
	ds_bpermute_b32 v50, v2, v28
	v_dual_add_f32 v10, v10, v51 :: v_dual_and_b32 v43, 2, v0
	ds_bpermute_b32 v49, v1, v25
	ds_bpermute_b32 v51, v2, v26
	;; [unrolled: 1-line block ×3, first 2 shown]
	v_cmp_eq_u32_e64 s10, 0, v43
	ds_bpermute_b32 v43, v2, v7
	v_cndmask_b32_e64 v25, -v25, v25, s9
	s_waitcnt lgkmcnt(7)
	v_dual_add_f32 v20, v20, v46 :: v_dual_add_f32 v29, v29, v47
	s_waitcnt lgkmcnt(6)
	v_add_f32_e32 v30, v30, v48
	v_cndmask_b32_e64 v27, -v27, v27, s10
	v_cndmask_b32_e64 v28, -v28, v28, s10
	ds_bpermute_b32 v47, v2, v3
	ds_bpermute_b32 v48, v2, v8
	;; [unrolled: 1-line block ×3, first 2 shown]
	v_cndmask_b32_e64 v6, -v6, v6, s10
	v_cndmask_b32_e64 v26, -v26, v26, s10
	s_waitcnt lgkmcnt(7)
	v_dual_add_f32 v27, v27, v45 :: v_dual_add_f32 v28, v28, v50
	ds_bpermute_b32 v45, v2, v44
	ds_bpermute_b32 v50, v2, v13
	v_cndmask_b32_e64 v31, -v31, v31, s10
	v_cndmask_b32_e64 v7, -v7, v7, s10
	;; [unrolled: 1-line block ×4, first 2 shown]
	ds_bpermute_b32 v52, v2, v5
	s_waitcnt lgkmcnt(8)
	v_dual_add_f32 v25, v25, v49 :: v_dual_add_f32 v26, v26, v51
	ds_bpermute_b32 v49, v2, v32
	s_waitcnt lgkmcnt(8)
	v_add_f32_e32 v31, v31, v53
	ds_bpermute_b32 v51, v2, v41
	ds_bpermute_b32 v53, v2, v14
	v_cndmask_b32_e64 v13, -v13, v13, s10
	s_waitcnt lgkmcnt(7)
	v_add_f32_e32 v8, v8, v48
	v_cndmask_b32_e64 v14, -v14, v14, s10
	v_add_f32_e32 v7, v7, v43
	ds_bpermute_b32 v48, v2, v10
	v_cndmask_b32_e64 v10, -v10, v10, s10
	v_add_f32_e32 v43, v3, v47
	v_cndmask_b32_e64 v3, -v44, v44, s10
	ds_bpermute_b32 v44, v2, v42
	s_waitcnt lgkmcnt(8)
	v_add_f32_e32 v6, v6, v46
	ds_bpermute_b32 v46, v2, v9
	s_waitcnt lgkmcnt(7)
	v_add_f32_e32 v13, v13, v50
	ds_bpermute_b32 v50, v2, v12
	v_cndmask_b32_e64 v12, -v12, v12, s10
	v_add_f32_e32 v45, v3, v45
	v_cndmask_b32_e64 v3, -v42, v42, s10
	ds_bpermute_b32 v42, v2, v16
	ds_bpermute_b32 v47, v2, v11
	v_cndmask_b32_e64 v5, -v5, v5, s10
	v_cndmask_b32_e64 v32, -v32, v32, s10
	;; [unrolled: 1-line block ×4, first 2 shown]
	s_waitcnt lgkmcnt(6)
	v_dual_add_f32 v14, v14, v53 :: v_dual_add_f32 v5, v5, v52
	v_add_f32_e32 v32, v32, v49
	ds_bpermute_b32 v52, v2, v15
	ds_bpermute_b32 v49, v2, v21
	v_cndmask_b32_e64 v11, -v11, v11, s10
	s_waitcnt lgkmcnt(6)
	v_add_f32_e32 v44, v3, v44
	v_cndmask_b32_e64 v3, -v16, v16, s10
	v_add_f32_e32 v41, v41, v51
	ds_bpermute_b32 v51, v2, v22
	v_cndmask_b32_e64 v16, -v22, v22, s10
	ds_bpermute_b32 v22, v2, v23
	ds_bpermute_b32 v53, v2, v24
	v_add_f32_e32 v10, v10, v48
	s_waitcnt lgkmcnt(6)
	v_add_f32_e32 v42, v3, v42
	v_cndmask_b32_e64 v24, -v24, v24, s10
	v_add_f32_e32 v9, v9, v46
	ds_bpermute_b32 v46, v2, v18
	v_cndmask_b32_e64 v3, -v23, v23, s10
	v_xor_b32_e32 v23, 4, v4
	ds_bpermute_b32 v48, v2, v20
	v_cndmask_b32_e64 v18, -v18, v18, s10
	s_waitcnt lgkmcnt(7)
	v_add_f32_e32 v11, v11, v47
	ds_bpermute_b32 v47, v2, v19
	v_cmp_gt_i32_e64 s11, 32, v23
	v_cndmask_b32_e64 v15, -v15, v15, s10
	v_cndmask_b32_e64 v21, -v21, v21, s10
	v_add_f32_e32 v12, v12, v50
	ds_bpermute_b32 v50, v2, v30
	v_cndmask_b32_e64 v23, v4, v23, s11
	s_waitcnt lgkmcnt(6)
	v_dual_add_f32 v15, v15, v52 :: v_dual_add_f32 v16, v16, v51
	ds_bpermute_b32 v52, v2, v17
	s_waitcnt lgkmcnt(6)
	v_dual_add_f32 v21, v21, v49 :: v_dual_add_f32 v22, v3, v22
	ds_bpermute_b32 v49, v2, v29
	v_cndmask_b32_e64 v20, -v20, v20, s10
	v_lshlrev_b32_e32 v3, 2, v23
	v_cndmask_b32_e64 v19, -v19, v19, s10
	ds_bpermute_b32 v51, v2, v25
	s_waitcnt lgkmcnt(6)
	v_add_f32_e32 v18, v18, v46
	s_waitcnt lgkmcnt(5)
	v_add_f32_e32 v20, v20, v48
	ds_bpermute_b32 v46, v3, v27
	s_waitcnt lgkmcnt(5)
	v_add_f32_e32 v19, v19, v47
	v_cndmask_b32_e64 v23, -v29, v29, s10
	v_cndmask_b32_e64 v29, -v30, v30, s10
	v_and_b32_e32 v30, 4, v0
	v_cndmask_b32_e64 v17, -v17, v17, s10
	v_add_f32_e32 v24, v24, v53
	v_cndmask_b32_e64 v25, -v25, v25, s10
	ds_bpermute_b32 v47, v3, v28
	v_cmp_eq_u32_e64 s11, 0, v30
	ds_bpermute_b32 v53, v3, v5
	ds_bpermute_b32 v54, v3, v31
	;; [unrolled: 1-line block ×3, first 2 shown]
	v_cndmask_b32_e64 v27, -v27, v27, s11
	v_cndmask_b32_e64 v28, -v28, v28, s11
	s_waitcnt lgkmcnt(7)
	v_add_f32_e32 v17, v17, v52
	ds_bpermute_b32 v52, v3, v26
	v_cndmask_b32_e64 v26, -v26, v26, s11
	s_waitcnt lgkmcnt(7)
	v_add_f32_e32 v23, v23, v49
	v_cndmask_b32_e64 v30, -v31, v31, s11
	ds_bpermute_b32 v31, v3, v7
	ds_bpermute_b32 v49, v3, v43
	v_cndmask_b32_e64 v6, -v6, v6, s11
	v_add_f32_e32 v29, v29, v50
	ds_bpermute_b32 v50, v3, v8
	s_waitcnt lgkmcnt(9)
	v_add_f32_e32 v25, v25, v51
	ds_bpermute_b32 v51, v3, v32
	v_cndmask_b32_e64 v32, -v32, v32, s11
	s_waitcnt lgkmcnt(9)
	v_add_f32_e32 v27, v27, v46
	ds_bpermute_b32 v46, v3, v45
	v_cndmask_b32_e64 v5, -v5, v5, s11
	v_cndmask_b32_e64 v7, -v7, v7, s11
	;; [unrolled: 1-line block ×4, first 2 shown]
	s_waitcnt lgkmcnt(7)
	v_dual_add_f32 v30, v30, v54 :: v_dual_add_f32 v5, v5, v53
	ds_bpermute_b32 v54, v3, v14
	v_cndmask_b32_e64 v14, -v14, v14, s11
	v_add_f32_e32 v28, v28, v47
	ds_bpermute_b32 v47, v3, v13
	s_waitcnt lgkmcnt(6)
	v_dual_add_f32 v7, v7, v31 :: v_dual_add_f32 v6, v6, v48
	ds_bpermute_b32 v48, v3, v9
	v_add_f32_e32 v26, v26, v52
	s_waitcnt lgkmcnt(5)
	v_add_f32_e32 v8, v8, v50
	ds_bpermute_b32 v50, v3, v10
	v_cndmask_b32_e64 v10, -v10, v10, s11
	v_add_f32_e32 v31, v43, v49
	v_cndmask_b32_e64 v43, -v45, v45, s11
	ds_bpermute_b32 v45, v3, v44
	ds_bpermute_b32 v49, v3, v11
	v_cndmask_b32_e64 v44, -v44, v44, s11
	ds_bpermute_b32 v52, v3, v41
	s_waitcnt lgkmcnt(7)
	v_add_f32_e32 v43, v43, v46
	ds_bpermute_b32 v46, v3, v42
	ds_bpermute_b32 v53, v3, v15
	v_add_f32_e32 v32, v32, v51
	v_cndmask_b32_e64 v13, -v13, v13, s11
	ds_bpermute_b32 v51, v3, v21
	v_cndmask_b32_e64 v9, -v9, v9, s11
	v_cndmask_b32_e64 v11, -v11, v11, s11
	;; [unrolled: 1-line block ×5, first 2 shown]
	s_waitcnt lgkmcnt(8)
	v_dual_add_f32 v13, v13, v47 :: v_dual_add_f32 v14, v14, v54
	ds_bpermute_b32 v47, v3, v12
	ds_bpermute_b32 v54, v3, v24
	v_cndmask_b32_e64 v24, -v24, v24, s11
	s_waitcnt lgkmcnt(7)
	v_add_f32_e32 v44, v44, v45
	ds_bpermute_b32 v45, v3, v22
	v_add_f32_e32 v9, v9, v48
	ds_bpermute_b32 v48, v3, v18
	v_cndmask_b32_e64 v18, -v18, v18, s11
	s_waitcnt lgkmcnt(8)
	v_add_f32_e32 v11, v11, v49
	ds_bpermute_b32 v49, v3, v19
	s_waitcnt lgkmcnt(7)
	v_add_f32_e32 v42, v42, v46
	v_xor_b32_e32 v46, 8, v4
	v_cndmask_b32_e64 v12, -v12, v12, s11
	v_add_f32_e32 v41, v41, v52
	ds_bpermute_b32 v52, v3, v16
	v_cndmask_b32_e64 v16, -v16, v16, s11
	s_waitcnt lgkmcnt(7)
	v_add_f32_e32 v15, v15, v53
	ds_bpermute_b32 v53, v3, v17
	v_cmp_gt_i32_e64 s12, 32, v46
	v_cndmask_b32_e64 v21, -v21, v21, s11
	v_cndmask_b32_e64 v22, -v22, v22, s11
	;; [unrolled: 1-line block ×4, first 2 shown]
	v_cndmask_b32_e64 v46, v4, v46, s12
	s_waitcnt lgkmcnt(4)
	v_dual_add_f32 v21, v21, v51 :: v_dual_add_f32 v22, v22, v45
	v_add_f32_e32 v12, v12, v47
	ds_bpermute_b32 v47, v3, v20
	v_lshlrev_b32_e32 v45, 2, v46
	v_cndmask_b32_e64 v20, -v20, v20, s11
	s_waitcnt lgkmcnt(3)
	v_dual_add_f32 v19, v19, v49 :: v_dual_and_b32 v46, 8, v0
	v_add_f32_e32 v10, v10, v50
	ds_bpermute_b32 v49, v45, v28
	ds_bpermute_b32 v50, v3, v23
	;; [unrolled: 1-line block ×3, first 2 shown]
	v_cmp_eq_u32_e64 s12, 0, v46
	s_waitcnt lgkmcnt(4)
	v_dual_add_f32 v17, v17, v53 :: v_dual_add_f32 v18, v18, v48
	v_add_f32_e32 v16, v16, v52
	ds_bpermute_b32 v52, v3, v25
	v_cndmask_b32_e64 v28, -v28, v28, s12
	v_add_f32_e32 v24, v24, v54
	v_cndmask_b32_e64 v23, -v23, v23, s11
	v_cndmask_b32_e64 v29, -v29, v29, s11
	;; [unrolled: 1-line block ×3, first 2 shown]
	s_waitcnt lgkmcnt(4)
	v_add_f32_e32 v20, v20, v47
	s_waitcnt lgkmcnt(3)
	v_add_f32_e32 v28, v28, v49
	ds_bpermute_b32 v48, v45, v27
	ds_bpermute_b32 v53, v45, v26
	;; [unrolled: 1-line block ×4, first 2 shown]
	v_cndmask_b32_e64 v27, -v27, v27, s12
	ds_bpermute_b32 v46, v45, v7
	ds_bpermute_b32 v47, v45, v6
	v_cndmask_b32_e64 v26, -v26, v26, s12
	s_waitcnt lgkmcnt(8)
	v_add_f32_e32 v23, v23, v50
	ds_bpermute_b32 v50, v45, v31
	v_cndmask_b32_e64 v7, -v7, v7, s12
	s_waitcnt lgkmcnt(8)
	v_add_f32_e32 v29, v29, v51
	ds_bpermute_b32 v51, v45, v8
	v_cndmask_b32_e64 v8, -v8, v8, s12
	ds_bpermute_b32 v49, v45, v13
	v_cndmask_b32_e64 v5, -v5, v5, s12
	v_cndmask_b32_e64 v30, -v30, v30, s12
	s_waitcnt lgkmcnt(9)
	v_add_f32_e32 v25, v25, v52
	ds_bpermute_b32 v52, v45, v32
	v_cndmask_b32_e64 v6, -v6, v6, s12
	s_waitcnt lgkmcnt(9)
	v_add_f32_e32 v27, v27, v48
	ds_bpermute_b32 v48, v45, v43
	s_waitcnt lgkmcnt(9)
	v_add_f32_e32 v26, v26, v53
	ds_bpermute_b32 v53, v45, v41
	s_waitcnt lgkmcnt(8)
	v_add_f32_e32 v30, v30, v55
	v_cndmask_b32_e64 v31, -v31, v31, s12
	v_cndmask_b32_e64 v32, -v32, v32, s12
	v_add_f32_e32 v5, v5, v54
	ds_bpermute_b32 v54, v45, v15
	ds_bpermute_b32 v55, v45, v14
	s_waitcnt lgkmcnt(9)
	v_add_f32_e32 v46, v7, v46
	v_cndmask_b32_e64 v7, -v13, v13, s12
	v_cndmask_b32_e64 v13, -v15, v15, s12
	s_waitcnt lgkmcnt(8)
	v_add_f32_e32 v47, v6, v47
	v_cndmask_b32_e64 v6, -v43, v43, s12
	ds_bpermute_b32 v15, v45, v44
	ds_bpermute_b32 v43, v45, v11
	s_waitcnt lgkmcnt(8)
	v_dual_add_f32 v31, v31, v50 :: v_dual_add_f32 v50, v8, v51
	v_cndmask_b32_e64 v8, -v41, v41, s12
	ds_bpermute_b32 v41, v45, v9
	s_waitcnt lgkmcnt(6)
	v_add_f32_e32 v48, v6, v48
	v_cndmask_b32_e64 v6, -v44, v44, s12
	v_add_f32_e32 v49, v7, v49
	v_cndmask_b32_e64 v7, -v9, v9, s12
	ds_bpermute_b32 v9, v45, v42
	v_add_f32_e32 v32, v32, v52
	v_cndmask_b32_e64 v14, -v14, v14, s12
	ds_bpermute_b32 v51, v45, v10
	ds_bpermute_b32 v52, v45, v21
	v_cndmask_b32_e64 v21, -v21, v21, s12
	s_waitcnt lgkmcnt(8)
	v_add_f32_e32 v53, v8, v53
	v_cndmask_b32_e64 v8, -v11, v11, s12
	ds_bpermute_b32 v11, v45, v12
	s_waitcnt lgkmcnt(8)
	v_add_f32_e32 v54, v13, v54
	ds_bpermute_b32 v13, v45, v16
	s_waitcnt lgkmcnt(7)
	v_add_f32_e32 v56, v6, v15
	v_cndmask_b32_e64 v6, -v42, v42, s12
	s_waitcnt lgkmcnt(6)
	v_add_f32_e32 v43, v8, v43
	v_cndmask_b32_e64 v8, -v16, v16, s12
	v_add_f32_e32 v55, v14, v55
	ds_bpermute_b32 v14, v45, v17
	ds_bpermute_b32 v44, v45, v24
	v_cndmask_b32_e64 v10, -v10, v10, s12
	v_cndmask_b32_e64 v16, -v17, v17, s12
	s_waitcnt lgkmcnt(6)
	v_add_f32_e32 v42, v6, v9
	v_xor_b32_e32 v9, 16, v4
	v_cndmask_b32_e64 v17, -v24, v24, s12
	v_add_f32_e32 v41, v7, v41
	v_cndmask_b32_e64 v7, -v12, v12, s12
	ds_bpermute_b32 v12, v45, v18
	v_cmp_gt_i32_e64 s13, 32, v9
	ds_bpermute_b32 v15, v45, v19
	v_cndmask_b32_e64 v6, -v22, v22, s12
	s_waitcnt lgkmcnt(6)
	v_add_f32_e32 v52, v21, v52
	s_waitcnt lgkmcnt(4)
	v_add_f32_e32 v58, v8, v13
	v_cndmask_b32_e64 v4, v4, v9, s13
	v_add_f32_e32 v57, v7, v11
	v_cndmask_b32_e64 v7, -v18, v18, s12
	v_add_f32_e32 v51, v10, v51
	ds_bpermute_b32 v10, v45, v22
	s_waitcnt lgkmcnt(4)
	v_add_f32_e32 v59, v16, v14
	ds_bpermute_b32 v11, v45, v20
	ds_bpermute_b32 v13, v45, v23
	;; [unrolled: 1-line block ×3, first 2 shown]
	v_cndmask_b32_e64 v8, -v19, v19, s12
	ds_bpermute_b32 v16, v45, v25
	v_lshlrev_b32_e32 v4, 2, v4
	s_waitcnt lgkmcnt(7)
	v_add_f32_e32 v44, v17, v44
	v_cndmask_b32_e64 v9, -v25, v25, s12
	s_waitcnt lgkmcnt(6)
	v_add_f32_e32 v60, v7, v12
	v_cndmask_b32_e64 v7, -v23, v23, s12
	ds_bpermute_b32 v12, v4, v27
	ds_bpermute_b32 v17, v4, v26
	;; [unrolled: 1-line block ×3, first 2 shown]
	s_waitcnt lgkmcnt(8)
	v_add_f32_e32 v61, v8, v15
	v_cndmask_b32_e64 v8, -v29, v29, s12
	ds_bpermute_b32 v15, v4, v28
	ds_bpermute_b32 v19, v4, v30
	;; [unrolled: 1-line block ×3, first 2 shown]
	s_waitcnt lgkmcnt(10)
	v_add_f32_e32 v45, v6, v10
	v_cndmask_b32_e64 v6, -v20, v20, s12
	s_waitcnt lgkmcnt(8)
	v_dual_add_f32 v63, v7, v13 :: v_dual_and_b32 v10, 16, v0
	s_waitcnt lgkmcnt(7)
	v_add_f32_e32 v64, v8, v14
	ds_bpermute_b32 v13, v4, v47
	s_waitcnt lgkmcnt(7)
	v_dual_add_f32 v65, v9, v16 :: v_dual_add_f32 v62, v6, v11
	ds_bpermute_b32 v11, v4, v46
	ds_bpermute_b32 v14, v4, v31
	ds_bpermute_b32 v20, v4, v32
	v_cmp_eq_u32_e64 s12, 0, v10
	ds_bpermute_b32 v16, v4, v50
	ds_bpermute_b32 v22, v4, v53
	;; [unrolled: 1-line block ×4, first 2 shown]
	v_cndmask_b32_e64 v6, -v27, v27, s12
	v_cndmask_b32_e64 v7, -v28, v28, s12
	;; [unrolled: 1-line block ×5, first 2 shown]
	s_waitcnt lgkmcnt(10)
	v_dual_add_f32 v5, v6, v12 :: v_dual_add_f32 v6, v7, v15
	s_delay_alu instid0(VALU_DEP_3)
	v_dual_add_f32 v7, v8, v17 :: v_dual_add_f32 v8, v9, v18
	s_waitcnt lgkmcnt(9)
	v_add_f32_e32 v9, v10, v19
	v_cndmask_b32_e64 v10, -v46, v46, s12
	v_cndmask_b32_e64 v12, -v47, v47, s12
	;; [unrolled: 1-line block ×4, first 2 shown]
	ds_bpermute_b32 v19, v4, v48
	s_waitcnt lgkmcnt(7)
	v_dual_add_f32 v10, v10, v11 :: v_dual_add_f32 v11, v12, v13
	s_waitcnt lgkmcnt(6)
	v_add_f32_e32 v12, v15, v14
	s_waitcnt lgkmcnt(5)
	v_add_f32_e32 v14, v18, v20
	ds_bpermute_b32 v20, v4, v56
	ds_bpermute_b32 v25, v4, v41
	v_cndmask_b32_e64 v17, -v50, v50, s12
	ds_bpermute_b32 v26, v4, v43
	v_cndmask_b32_e64 v18, -v54, v54, s12
	ds_bpermute_b32 v28, v4, v51
	ds_bpermute_b32 v29, v4, v52
	s_waitcnt lgkmcnt(9)
	v_add_f32_e32 v13, v17, v16
	v_cndmask_b32_e64 v16, -v49, v49, s12
	s_waitcnt lgkmcnt(7)
	v_add_f32_e32 v18, v18, v23
	v_cndmask_b32_e64 v17, -v53, v53, s12
	v_cndmask_b32_e64 v15, -v48, v48, s12
	;; [unrolled: 1-line block ×3, first 2 shown]
	v_add_f32_e32 v16, v16, v21
	v_cndmask_b32_e64 v21, -v56, v56, s12
	ds_bpermute_b32 v30, v4, v57
	ds_bpermute_b32 v32, v4, v59
	v_add_f32_e32 v17, v17, v22
	v_cndmask_b32_e64 v22, -v41, v41, s12
	ds_bpermute_b32 v41, v4, v44
	s_waitcnt lgkmcnt(7)
	v_dual_add_f32 v15, v15, v19 :: v_dual_add_f32 v20, v21, v20
	v_cndmask_b32_e64 v23, -v43, v43, s12
	ds_bpermute_b32 v31, v4, v58
	s_waitcnt lgkmcnt(7)
	v_add_f32_e32 v21, v22, v25
	v_cndmask_b32_e64 v25, -v52, v52, s12
	v_add_f32_e32 v19, v27, v24
	ds_bpermute_b32 v27, v4, v42
	ds_bpermute_b32 v43, v4, v45
	;; [unrolled: 1-line block ×3, first 2 shown]
	v_cndmask_b32_e64 v24, -v51, v51, s12
	s_waitcnt lgkmcnt(9)
	v_add_f32_e32 v22, v23, v26
	v_cndmask_b32_e64 v26, -v57, v57, s12
	ds_bpermute_b32 v46, v4, v61
	ds_bpermute_b32 v48, v4, v63
	s_waitcnt lgkmcnt(9)
	v_dual_add_f32 v23, v24, v28 :: v_dual_add_f32 v24, v25, v29
	s_waitcnt lgkmcnt(8)
	v_add_f32_e32 v26, v26, v30
	v_cndmask_b32_e64 v25, -v42, v42, s12
	ds_bpermute_b32 v42, v4, v60
	v_cndmask_b32_e64 v29, -v44, v44, s12
	v_cndmask_b32_e64 v28, -v58, v58, s12
	ds_bpermute_b32 v44, v4, v64
	ds_bpermute_b32 v4, v4, v65
	v_cndmask_b32_e64 v30, -v45, v45, s12
	s_waitcnt lgkmcnt(9)
	v_add_f32_e32 v29, v29, v41
	v_cndmask_b32_e64 v41, -v62, v62, s12
	v_lshrrev_b32_e32 v45, 5, v0
	s_waitcnt lgkmcnt(7)
	v_add_f32_e32 v25, v25, v27
	s_waitcnt lgkmcnt(6)
	v_add_f32_e32 v30, v30, v43
	v_cndmask_b32_e64 v43, -v63, v63, s12
	v_add_f32_e32 v27, v28, v31
	v_cndmask_b32_e64 v28, -v59, v59, s12
	s_waitcnt lgkmcnt(5)
	v_add_f32_e32 v41, v41, v47
	v_xor_b32_e32 v45, v45, v0
	v_and_b32_e32 v47, 7, v0
	v_lshrrev_b32_e32 v0, 3, v0
	v_add_f32_e32 v28, v28, v32
	v_cndmask_b32_e64 v31, -v60, v60, s12
	v_cndmask_b32_e64 v32, -v61, v61, s12
	s_delay_alu instid0(VALU_DEP_4) | instskip(SKIP_1) | instid1(VALU_DEP_2)
	v_lshl_or_b32 v0, v47, 5, v0
	s_waitcnt lgkmcnt(4)
	v_add_f32_e32 v32, v32, v46
	v_cndmask_b32_e64 v46, -v65, v65, s12
	s_waitcnt lgkmcnt(2)
	v_add_f32_e32 v31, v31, v42
	v_add_f32_e32 v42, v43, v48
	v_cndmask_b32_e64 v43, -v64, v64, s12
	v_xor_b32_e32 v0, v0, v47
	s_waitcnt lgkmcnt(1)
	s_delay_alu instid0(VALU_DEP_2)
	v_add_f32_e32 v43, v43, v44
	s_waitcnt lgkmcnt(0)
	v_add_f32_e32 v44, v46, v4
	v_lshl_add_u32 v4, v45, 4, 0
	v_lshl_add_u32 v0, v0, 4, 0
	ds_store_b128 v4, v[5:8]
	ds_store_b128 v4, v[9:12] offset:4096
	ds_store_b128 v4, v[13:16] offset:8192
	;; [unrolled: 1-line block ×7, first 2 shown]
	s_waitcnt lgkmcnt(0)
	s_barrier
	buffer_gl0_inv
	ds_load_b128 v[5:8], v0
	ds_load_b128 v[9:12], v0 offset:4096
	ds_load_b128 v[13:16], v0 offset:8192
	ds_load_b128 v[17:20], v0 offset:12288
	ds_load_b128 v[21:24], v0 offset:16384
	ds_load_b128 v[25:28], v0 offset:20480
	ds_load_b128 v[29:32], v0 offset:24576
	ds_load_b128 v[41:44], v0 offset:28672
	s_waitcnt lgkmcnt(0)
	s_barrier
	buffer_gl0_inv
	ds_bpermute_b32 v45, v1, v5
	v_cndmask_b32_e64 v5, -v5, v5, s9
	ds_bpermute_b32 v46, v1, v6
	ds_bpermute_b32 v47, v1, v7
	;; [unrolled: 1-line block ×5, first 2 shown]
	v_cndmask_b32_e64 v8, -v8, v8, s9
	ds_bpermute_b32 v51, v1, v12
	ds_bpermute_b32 v52, v1, v13
	;; [unrolled: 1-line block ×4, first 2 shown]
	v_cndmask_b32_e64 v6, -v6, v6, s9
	v_cndmask_b32_e64 v7, -v7, v7, s9
	;; [unrolled: 1-line block ×8, first 2 shown]
	s_waitcnt lgkmcnt(9)
	v_add_f32_e32 v5, v5, v45
	ds_bpermute_b32 v45, v1, v11
	s_waitcnt lgkmcnt(8)
	v_dual_add_f32 v6, v6, v46 :: v_dual_add_f32 v7, v7, v47
	s_waitcnt lgkmcnt(7)
	v_add_f32_e32 v8, v8, v48
	v_cndmask_b32_e64 v11, -v11, v11, s9
	ds_bpermute_b32 v46, v1, v16
	ds_bpermute_b32 v47, v1, v17
	;; [unrolled: 1-line block ×3, first 2 shown]
	v_cndmask_b32_e64 v16, -v16, v16, s9
	s_waitcnt lgkmcnt(5)
	v_add_f32_e32 v14, v14, v53
	v_add_f32_e32 v9, v9, v49
	ds_bpermute_b32 v49, v1, v19
	v_add_f32_e32 v10, v10, v50
	ds_bpermute_b32 v50, v1, v20
	v_add_f32_e32 v12, v12, v51
	v_cndmask_b32_e64 v18, -v18, v18, s9
	v_cndmask_b32_e64 v20, -v20, v20, s9
	v_add_f32_e32 v13, v13, v52
	ds_bpermute_b32 v51, v1, v22
	ds_bpermute_b32 v52, v1, v23
	s_waitcnt lgkmcnt(7)
	v_add_f32_e32 v11, v11, v45
	ds_bpermute_b32 v45, v1, v21
	ds_bpermute_b32 v53, v1, v24
	v_cndmask_b32_e64 v22, -v22, v22, s9
	v_add_f32_e32 v15, v15, v54
	ds_bpermute_b32 v54, v1, v25
	v_cndmask_b32_e64 v17, -v17, v17, s9
	v_cndmask_b32_e64 v19, -v19, v19, s9
	s_waitcnt lgkmcnt(9)
	v_add_f32_e32 v16, v16, v46
	s_waitcnt lgkmcnt(7)
	v_add_f32_e32 v18, v18, v48
	v_cndmask_b32_e64 v21, -v21, v21, s9
	v_cndmask_b32_e64 v23, -v23, v23, s9
	;; [unrolled: 1-line block ×3, first 2 shown]
	v_add_f32_e32 v17, v17, v47
	v_cndmask_b32_e64 v25, -v25, v25, s9
	ds_bpermute_b32 v46, v1, v26
	ds_bpermute_b32 v47, v1, v27
	;; [unrolled: 1-line block ×3, first 2 shown]
	v_cndmask_b32_e64 v26, -v26, v26, s9
	s_waitcnt lgkmcnt(9)
	v_add_f32_e32 v19, v19, v49
	ds_bpermute_b32 v49, v1, v29
	s_waitcnt lgkmcnt(9)
	v_add_f32_e32 v20, v20, v50
	ds_bpermute_b32 v50, v1, v30
	s_waitcnt lgkmcnt(9)
	v_add_f32_e32 v22, v22, v51
	s_waitcnt lgkmcnt(6)
	v_add_f32_e32 v24, v24, v53
	v_cndmask_b32_e64 v28, -v28, v28, s9
	v_add_f32_e32 v21, v21, v45
	v_cndmask_b32_e64 v30, -v30, v30, s9
	v_add_f32_e32 v23, v23, v52
	ds_bpermute_b32 v45, v1, v31
	ds_bpermute_b32 v51, v1, v32
	;; [unrolled: 1-line block ×4, first 2 shown]
	v_cndmask_b32_e64 v32, -v32, v32, s9
	s_waitcnt lgkmcnt(9)
	v_add_f32_e32 v25, v25, v54
	ds_bpermute_b32 v54, v1, v43
	ds_bpermute_b32 v1, v1, v44
	v_cndmask_b32_e64 v27, -v27, v27, s9
	v_cndmask_b32_e64 v29, -v29, v29, s9
	s_waitcnt lgkmcnt(10)
	v_add_f32_e32 v26, v26, v46
	s_waitcnt lgkmcnt(8)
	v_add_f32_e32 v28, v28, v48
	v_cndmask_b32_e64 v31, -v31, v31, s9
	v_cndmask_b32_e64 v41, -v41, v41, s9
	;; [unrolled: 1-line block ×3, first 2 shown]
	v_add_f32_e32 v27, v27, v47
	ds_bpermute_b32 v46, v2, v5
	ds_bpermute_b32 v47, v2, v6
	;; [unrolled: 1-line block ×3, first 2 shown]
	v_cndmask_b32_e64 v44, -v44, v44, s9
	v_cndmask_b32_e64 v6, -v6, v6, s10
	s_waitcnt lgkmcnt(10)
	v_add_f32_e32 v29, v29, v49
	ds_bpermute_b32 v49, v2, v8
	s_waitcnt lgkmcnt(10)
	v_add_f32_e32 v30, v30, v50
	s_waitcnt lgkmcnt(8)
	v_add_f32_e32 v32, v32, v51
	v_cndmask_b32_e64 v8, -v8, v8, s10
	s_waitcnt lgkmcnt(7)
	v_add_f32_e32 v41, v41, v52
	ds_bpermute_b32 v50, v2, v10
	ds_bpermute_b32 v51, v2, v11
	;; [unrolled: 1-line block ×3, first 2 shown]
	s_waitcnt lgkmcnt(7)
	v_add_f32_e32 v1, v44, v1
	v_cndmask_b32_e64 v10, -v10, v10, s10
	v_add_f32_e32 v31, v31, v45
	ds_bpermute_b32 v45, v2, v9
	ds_bpermute_b32 v44, v2, v14
	v_cndmask_b32_e64 v5, -v5, v5, s10
	v_cndmask_b32_e64 v7, -v7, v7, s10
	;; [unrolled: 1-line block ×3, first 2 shown]
	v_add_f32_e32 v42, v42, v53
	ds_bpermute_b32 v53, v2, v13
	s_waitcnt lgkmcnt(8)
	v_add_f32_e32 v6, v6, v47
	v_cndmask_b32_e64 v9, -v9, v9, s10
	s_waitcnt lgkmcnt(6)
	v_add_f32_e32 v8, v8, v49
	v_cndmask_b32_e64 v11, -v11, v11, s10
	v_cndmask_b32_e64 v12, -v12, v12, s10
	ds_bpermute_b32 v47, v2, v16
	ds_bpermute_b32 v49, v2, v18
	s_waitcnt lgkmcnt(7)
	v_add_f32_e32 v10, v10, v50
	v_cndmask_b32_e64 v14, -v14, v14, s10
	v_cndmask_b32_e64 v16, -v16, v16, s10
	v_add_f32_e32 v5, v5, v46
	ds_bpermute_b32 v46, v2, v15
	v_cndmask_b32_e64 v18, -v18, v18, s10
	v_add_f32_e32 v7, v7, v48
	ds_bpermute_b32 v48, v2, v17
	s_waitcnt lgkmcnt(7)
	v_dual_add_f32 v43, v43, v54 :: v_dual_add_f32 v12, v12, v52
	ds_bpermute_b32 v50, v2, v20
	ds_bpermute_b32 v52, v2, v22
	s_waitcnt lgkmcnt(7)
	v_add_f32_e32 v14, v14, v44
	v_cndmask_b32_e64 v20, -v20, v20, s10
	v_add_f32_e32 v9, v9, v45
	ds_bpermute_b32 v45, v2, v19
	v_cndmask_b32_e64 v22, -v22, v22, s10
	v_add_f32_e32 v11, v11, v51
	ds_bpermute_b32 v51, v2, v21
	ds_bpermute_b32 v44, v2, v24
	v_cndmask_b32_e64 v13, -v13, v13, s10
	v_cndmask_b32_e64 v15, -v15, v15, s10
	;; [unrolled: 1-line block ×3, first 2 shown]
	s_waitcnt lgkmcnt(8)
	v_add_f32_e32 v16, v16, v47
	s_waitcnt lgkmcnt(7)
	v_add_f32_e32 v18, v18, v49
	v_cndmask_b32_e64 v19, -v19, v19, s10
	v_cndmask_b32_e64 v21, -v21, v21, s10
	ds_bpermute_b32 v47, v2, v26
	ds_bpermute_b32 v49, v2, v28
	v_cndmask_b32_e64 v24, -v24, v24, s10
	v_add_f32_e32 v13, v13, v53
	ds_bpermute_b32 v53, v2, v23
	v_cndmask_b32_e64 v26, -v26, v26, s10
	s_waitcnt lgkmcnt(9)
	v_add_f32_e32 v15, v15, v46
	ds_bpermute_b32 v46, v2, v25
	v_cndmask_b32_e64 v28, -v28, v28, s10
	s_waitcnt lgkmcnt(9)
	v_add_f32_e32 v17, v17, v48
	ds_bpermute_b32 v48, v2, v27
	s_waitcnt lgkmcnt(9)
	v_add_f32_e32 v20, v20, v50
	s_waitcnt lgkmcnt(8)
	v_add_f32_e32 v22, v22, v52
	ds_bpermute_b32 v50, v2, v30
	ds_bpermute_b32 v52, v2, v32
	s_waitcnt lgkmcnt(7)
	v_add_f32_e32 v24, v24, v44
	v_cndmask_b32_e64 v30, -v30, v30, s10
	v_add_f32_e32 v19, v19, v45
	ds_bpermute_b32 v45, v2, v29
	v_cndmask_b32_e64 v32, -v32, v32, s10
	v_add_f32_e32 v21, v21, v51
	ds_bpermute_b32 v51, v2, v31
	ds_bpermute_b32 v44, v2, v42
	v_cndmask_b32_e64 v23, -v23, v23, s10
	v_cndmask_b32_e64 v25, -v25, v25, s10
	;; [unrolled: 1-line block ×3, first 2 shown]
	s_waitcnt lgkmcnt(8)
	v_add_f32_e32 v28, v28, v49
	v_cndmask_b32_e64 v29, -v29, v29, s10
	v_cndmask_b32_e64 v31, -v31, v31, s10
	;; [unrolled: 1-line block ×3, first 2 shown]
	s_waitcnt lgkmcnt(7)
	v_add_f32_e32 v23, v23, v53
	ds_bpermute_b32 v53, v2, v41
	ds_bpermute_b32 v49, v3, v8
	v_cndmask_b32_e64 v8, -v8, v8, s11
	s_waitcnt lgkmcnt(7)
	v_add_f32_e32 v27, v27, v48
	ds_bpermute_b32 v48, v3, v6
	v_cndmask_b32_e64 v6, -v6, v6, s11
	v_add_f32_e32 v25, v25, v46
	ds_bpermute_b32 v46, v2, v43
	ds_bpermute_b32 v2, v2, v1
	v_cndmask_b32_e64 v1, -v1, v1, s10
	v_add_f32_e32 v26, v26, v47
	s_waitcnt lgkmcnt(5)
	v_add_f32_e32 v42, v42, v44
	ds_bpermute_b32 v44, v3, v12
	v_add_f32_e32 v31, v31, v51
	ds_bpermute_b32 v51, v3, v10
	v_cndmask_b32_e64 v10, -v10, v10, s11
	v_add_f32_e32 v29, v29, v45
	ds_bpermute_b32 v45, v3, v7
	ds_bpermute_b32 v47, v3, v5
	v_cndmask_b32_e64 v41, -v41, v41, s10
	v_cndmask_b32_e64 v43, -v43, v43, s10
	s_waitcnt lgkmcnt(7)
	v_add_f32_e32 v8, v8, v49
	ds_bpermute_b32 v49, v3, v18
	v_cndmask_b32_e64 v18, -v18, v18, s11
	v_cndmask_b32_e64 v5, -v5, v5, s11
	v_add_f32_e32 v30, v30, v50
	v_add_f32_e32 v32, v32, v52
	ds_bpermute_b32 v50, v3, v9
	s_waitcnt lgkmcnt(6)
	v_add_f32_e32 v1, v1, v2
	v_cndmask_b32_e64 v2, -v7, v7, s11
	ds_bpermute_b32 v52, v3, v11
	v_cndmask_b32_e64 v9, -v9, v9, s11
	v_cndmask_b32_e64 v11, -v11, v11, s11
	v_add_f32_e32 v6, v6, v48
	s_waitcnt lgkmcnt(5)
	v_add_f32_e32 v10, v10, v51
	ds_bpermute_b32 v51, v3, v20
	v_cndmask_b32_e64 v20, -v20, v20, s11
	s_waitcnt lgkmcnt(5)
	v_add_f32_e32 v7, v2, v45
	ds_bpermute_b32 v45, v3, v17
	v_cndmask_b32_e64 v2, -v12, v12, s11
	ds_bpermute_b32 v48, v3, v15
	v_cndmask_b32_e64 v15, -v15, v15, s11
	s_waitcnt lgkmcnt(5)
	v_add_f32_e32 v18, v18, v49
	ds_bpermute_b32 v49, v3, v28
	v_add_f32_e32 v12, v2, v44
	v_cndmask_b32_e64 v2, -v17, v17, s11
	ds_bpermute_b32 v44, v3, v22
	v_cndmask_b32_e64 v28, -v28, v28, s11
	s_load_b32 s9, s[0:1], 0x20
	s_mul_i32 s0, s22, s14
	s_mul_hi_u32 s1, s22, s15
	s_delay_alu instid0(SALU_CYCLE_1)
	s_add_i32 s0, s1, s0
	s_mul_i32 s1, s23, s15
	s_waitcnt lgkmcnt(0)
	v_add_f32_e32 v20, v20, v51
	ds_bpermute_b32 v51, v3, v30
	v_cndmask_b32_e64 v30, -v30, v30, s11
	v_add_f32_e32 v17, v2, v45
	v_cndmask_b32_e64 v2, -v22, v22, s11
	v_add_f32_e32 v5, v5, v47
	ds_bpermute_b32 v47, v3, v14
	v_cndmask_b32_e64 v14, -v14, v14, s11
	v_add_f32_e32 v41, v41, v53
	ds_bpermute_b32 v53, v3, v16
	;; [unrolled: 3-line block ×4, first 2 shown]
	ds_bpermute_b32 v45, v3, v27
	v_add_f32_e32 v22, v2, v44
	ds_bpermute_b32 v2, v3, v32
	v_cndmask_b32_e64 v25, -v25, v25, s11
	v_cndmask_b32_e64 v27, -v27, v27, s11
	s_waitcnt lgkmcnt(6)
	v_add_f32_e32 v30, v30, v51
	v_cndmask_b32_e64 v32, -v32, v32, s11
	v_add_f32_e32 v28, v28, v49
	s_add_i32 s1, s0, s1
	s_mul_i32 s0, s22, s15
	s_waitcnt lgkmcnt(5)
	v_add_f32_e32 v14, v14, v47
	ds_bpermute_b32 v47, v3, v24
	v_cndmask_b32_e64 v24, -v24, v24, s11
	v_add_f32_e32 v9, v9, v50
	ds_bpermute_b32 v50, v3, v19
	s_waitcnt lgkmcnt(5)
	v_dual_add_f32 v16, v16, v53 :: v_dual_add_f32 v13, v13, v46
	ds_bpermute_b32 v46, v3, v23
	ds_bpermute_b32 v53, v3, v26
	v_cndmask_b32_e64 v26, -v26, v26, s11
	v_add_f32_e32 v11, v11, v52
	ds_bpermute_b32 v52, v3, v21
	v_cndmask_b32_e64 v19, -v19, v19, s11
	v_cndmask_b32_e64 v21, -v21, v21, s11
	;; [unrolled: 1-line block ×3, first 2 shown]
	ds_bpermute_b32 v44, v3, v41
	v_cndmask_b32_e64 v41, -v41, v41, s11
	s_waitcnt lgkmcnt(8)
	v_add_f32_e32 v25, v25, v48
	s_waitcnt lgkmcnt(6)
	v_dual_add_f32 v27, v27, v45 :: v_dual_add_f32 v32, v32, v2
	s_lshl_b64 s[0:1], s[0:1], 2
	s_waitcnt lgkmcnt(5)
	v_add_f32_e32 v24, v24, v47
	ds_bpermute_b32 v47, v3, v43
	v_cndmask_b32_e64 v43, -v43, v43, s11
	s_waitcnt lgkmcnt(5)
	v_add_f32_e32 v19, v19, v50
	ds_bpermute_b32 v50, v3, v29
	v_cndmask_b32_e64 v29, -v29, v29, s11
	;; [unrolled: 4-line block ×3, first 2 shown]
	s_waitcnt lgkmcnt(4)
	v_dual_add_f32 v26, v26, v53 :: v_dual_add_f32 v21, v21, v52
	ds_bpermute_b32 v52, v3, v31
	ds_bpermute_b32 v3, v3, v1
	v_cndmask_b32_e64 v31, -v31, v31, s11
	v_cndmask_b32_e64 v1, -v1, v1, s11
	s_waitcnt lgkmcnt(5)
	v_add_f32_e32 v41, v41, v44
	s_add_u32 s0, s18, s0
	s_addc_u32 s1, s19, s1
	s_waitcnt lgkmcnt(4)
	v_add_f32_e32 v43, v43, v47
	s_waitcnt lgkmcnt(3)
	v_add_f32_e32 v29, v29, v50
	s_waitcnt lgkmcnt(1)
	v_dual_add_f32 v42, v42, v46 :: v_dual_add_f32 v31, v31, v52
	s_waitcnt lgkmcnt(0)
	v_add_f32_e32 v44, v1, v3
	ds_store_b128 v0, v[5:8]
	ds_store_b128 v0, v[9:12] offset:4096
	ds_store_b128 v0, v[13:16] offset:8192
	;; [unrolled: 1-line block ×7, first 2 shown]
	s_waitcnt lgkmcnt(0)
	s_barrier
	buffer_gl0_inv
	ds_load_b128 v[24:27], v4
	ds_load_b128 v[28:31], v4 offset:4096
	ds_load_b128 v[16:19], v4 offset:8192
	;; [unrolled: 1-line block ×7, first 2 shown]
	s_waitcnt lgkmcnt(6)
	v_dual_add_f32 v48, v24, v28 :: v_dual_add_f32 v49, v25, v29
	v_add_f32_e32 v50, v26, v30
	s_waitcnt lgkmcnt(4)
	v_dual_add_f32 v52, v16, v20 :: v_dual_add_f32 v51, v27, v31
	v_dual_add_f32 v54, v18, v22 :: v_dual_add_f32 v53, v17, v21
	s_waitcnt lgkmcnt(2)
	v_add_f32_e32 v56, v8, v12
	v_dual_add_f32 v58, v10, v14 :: v_dual_add_f32 v59, v11, v15
	s_delay_alu instid0(VALU_DEP_3)
	v_add_f32_e32 v42, v50, v54
	s_waitcnt lgkmcnt(0)
	v_dual_add_f32 v60, v0, v4 :: v_dual_add_f32 v55, v19, v23
	v_dual_add_f32 v61, v1, v5 :: v_dual_add_f32 v62, v2, v6
	v_add_f32_e32 v57, v9, v13
	v_dual_add_f32 v63, v3, v7 :: v_dual_add_f32 v32, v48, v52
	s_delay_alu instid0(VALU_DEP_3) | instskip(SKIP_1) | instid1(VALU_DEP_4)
	v_dual_add_f32 v41, v49, v53 :: v_dual_add_f32 v46, v58, v62
	v_dual_add_f32 v44, v56, v60 :: v_dual_add_f32 v43, v51, v55
	v_add_f32_e32 v45, v57, v61
	s_delay_alu instid0(VALU_DEP_4)
	v_add_f32_e32 v47, v59, v63
	s_and_saveexec_b32 s10, s4
	s_cbranch_execz .LBB10_18
; %bb.17:
	s_delay_alu instid0(VALU_DEP_1) | instskip(SKIP_1) | instid1(VALU_DEP_2)
	v_dual_add_f32 v64, v43, v47 :: v_dual_add_f32 v65, v42, v46
	v_dual_add_f32 v68, v41, v45 :: v_dual_add_f32 v69, v32, v44
	v_dual_mul_f32 v67, s9, v64 :: v_dual_mul_f32 v66, s9, v65
	s_delay_alu instid0(VALU_DEP_2)
	v_dual_mul_f32 v65, s9, v68 :: v_dual_mul_f32 v64, s9, v69
	global_store_b128 v35, v[64:67], s[0:1]
.LBB10_18:
	s_or_b32 exec_lo, exec_lo, s10
	v_dual_sub_f32 v24, v24, v28 :: v_dual_sub_f32 v25, v25, v29
	v_dual_sub_f32 v26, v26, v30 :: v_dual_sub_f32 v27, v27, v31
	;; [unrolled: 1-line block ×8, first 2 shown]
	v_dual_add_f32 v0, v24, v16 :: v_dual_add_f32 v1, v25, v17
	v_dual_add_f32 v2, v26, v18 :: v_dual_add_f32 v3, v27, v19
	s_delay_alu instid0(VALU_DEP_4) | instskip(NEXT) | instid1(VALU_DEP_4)
	v_dual_add_f32 v4, v20, v28 :: v_dual_add_f32 v5, v21, v29
	v_dual_add_f32 v6, v22, v30 :: v_dual_add_f32 v7, v23, v31
	s_and_saveexec_b32 s4, vcc_lo
	s_cbranch_execz .LBB10_20
; %bb.19:
	s_delay_alu instid0(VALU_DEP_2) | instskip(NEXT) | instid1(VALU_DEP_2)
	v_dual_add_f32 v8, v0, v4 :: v_dual_add_f32 v9, v1, v5
	v_dual_add_f32 v10, v2, v6 :: v_dual_add_f32 v11, v3, v7
	s_delay_alu instid0(VALU_DEP_2) | instskip(NEXT) | instid1(VALU_DEP_2)
	v_dual_mul_f32 v8, s9, v8 :: v_dual_mul_f32 v9, s9, v9
	v_dual_mul_f32 v10, s9, v10 :: v_dual_mul_f32 v11, s9, v11
	global_store_b128 v33, v[8:11], s[0:1]
.LBB10_20:
	s_or_b32 exec_lo, exec_lo, s4
	v_dual_sub_f32 v8, v48, v52 :: v_dual_sub_f32 v9, v49, v53
	v_dual_sub_f32 v10, v50, v54 :: v_dual_sub_f32 v11, v51, v55
	;; [unrolled: 1-line block ×4, first 2 shown]
	s_and_saveexec_b32 s4, s2
	s_cbranch_execz .LBB10_22
; %bb.21:
	s_delay_alu instid0(VALU_DEP_1) | instskip(SKIP_1) | instid1(VALU_DEP_2)
	v_dual_add_f32 v33, v8, v12 :: v_dual_add_f32 v50, v10, v14
	v_add_f32_e32 v35, v9, v13
	v_dual_add_f32 v51, v11, v15 :: v_dual_mul_f32 v48, s9, v33
	s_delay_alu instid0(VALU_DEP_2) | instskip(NEXT) | instid1(VALU_DEP_2)
	v_dual_mul_f32 v50, s9, v50 :: v_dual_mul_f32 v49, s9, v35
	v_mul_f32_e32 v51, s9, v51
	global_store_b128 v34, v[48:51], s[0:1]
.LBB10_22:
	s_or_b32 exec_lo, exec_lo, s4
	v_dual_sub_f32 v16, v24, v16 :: v_dual_sub_f32 v17, v25, v17
	v_dual_sub_f32 v18, v26, v18 :: v_dual_sub_f32 v19, v27, v19
	;; [unrolled: 1-line block ×4, first 2 shown]
	s_and_saveexec_b32 s2, s3
	s_cbranch_execnz .LBB10_28
; %bb.23:
	s_or_b32 exec_lo, exec_lo, s2
	s_and_saveexec_b32 s2, s5
	s_cbranch_execnz .LBB10_29
.LBB10_24:
	s_or_b32 exec_lo, exec_lo, s2
	s_and_saveexec_b32 s2, s6
	s_cbranch_execnz .LBB10_30
.LBB10_25:
	s_or_b32 exec_lo, exec_lo, s2
	s_and_saveexec_b32 s2, s7
	s_cbranch_execnz .LBB10_31
.LBB10_26:
	s_or_b32 exec_lo, exec_lo, s2
	s_and_saveexec_b32 s2, s8
	s_cbranch_execnz .LBB10_32
.LBB10_27:
	s_nop 0
	s_sendmsg sendmsg(MSG_DEALLOC_VGPRS)
	s_endpgm
.LBB10_28:
	s_delay_alu instid0(VALU_DEP_2) | instskip(NEXT) | instid1(VALU_DEP_2)
	v_dual_add_f32 v24, v16, v20 :: v_dual_add_f32 v25, v17, v21
	v_dual_add_f32 v26, v18, v22 :: v_dual_add_f32 v27, v19, v23
	s_delay_alu instid0(VALU_DEP_2) | instskip(NEXT) | instid1(VALU_DEP_2)
	v_dual_mul_f32 v24, s9, v24 :: v_dual_mul_f32 v25, s9, v25
	v_dual_mul_f32 v26, s9, v26 :: v_dual_mul_f32 v27, s9, v27
	global_store_b128 v36, v[24:27], s[0:1]
	s_or_b32 exec_lo, exec_lo, s2
	s_and_saveexec_b32 s2, s5
	s_cbranch_execz .LBB10_24
.LBB10_29:
	v_dual_sub_f32 v24, v32, v44 :: v_dual_sub_f32 v25, v41, v45
	v_dual_sub_f32 v26, v42, v46 :: v_dual_sub_f32 v27, v43, v47
	s_delay_alu instid0(VALU_DEP_2) | instskip(NEXT) | instid1(VALU_DEP_2)
	v_dual_mul_f32 v24, s9, v24 :: v_dual_mul_f32 v25, s9, v25
	v_dual_mul_f32 v26, s9, v26 :: v_dual_mul_f32 v27, s9, v27
	global_store_b128 v37, v[24:27], s[0:1]
	s_or_b32 exec_lo, exec_lo, s2
	s_and_saveexec_b32 s2, s6
	s_cbranch_execz .LBB10_25
.LBB10_30:
	v_dual_sub_f32 v0, v0, v4 :: v_dual_sub_f32 v1, v1, v5
	v_dual_sub_f32 v2, v2, v6 :: v_dual_sub_f32 v3, v3, v7
	s_delay_alu instid0(VALU_DEP_2) | instskip(NEXT) | instid1(VALU_DEP_2)
	v_dual_mul_f32 v0, s9, v0 :: v_dual_mul_f32 v1, s9, v1
	v_dual_mul_f32 v2, s9, v2 :: v_dual_mul_f32 v3, s9, v3
	global_store_b128 v38, v[0:3], s[0:1]
	s_or_b32 exec_lo, exec_lo, s2
	s_and_saveexec_b32 s2, s7
	s_cbranch_execz .LBB10_26
.LBB10_31:
	v_dual_sub_f32 v0, v8, v12 :: v_dual_sub_f32 v1, v9, v13
	v_dual_sub_f32 v2, v10, v14 :: v_dual_sub_f32 v3, v11, v15
	s_delay_alu instid0(VALU_DEP_2) | instskip(NEXT) | instid1(VALU_DEP_2)
	v_dual_mul_f32 v0, s9, v0 :: v_dual_mul_f32 v1, s9, v1
	v_dual_mul_f32 v2, s9, v2 :: v_dual_mul_f32 v3, s9, v3
	global_store_b128 v39, v[0:3], s[0:1]
	s_or_b32 exec_lo, exec_lo, s2
	s_and_saveexec_b32 s2, s8
	s_cbranch_execz .LBB10_27
.LBB10_32:
	v_dual_sub_f32 v0, v16, v20 :: v_dual_sub_f32 v1, v17, v21
	v_dual_sub_f32 v2, v18, v22 :: v_dual_sub_f32 v3, v19, v23
	s_delay_alu instid0(VALU_DEP_2) | instskip(NEXT) | instid1(VALU_DEP_2)
	v_dual_mul_f32 v0, s9, v0 :: v_dual_mul_f32 v1, s9, v1
	v_dual_mul_f32 v2, s9, v2 :: v_dual_mul_f32 v3, s9, v3
	global_store_b128 v40, v[0:3], s[0:1]
	s_nop 0
	s_sendmsg sendmsg(MSG_DEALLOC_VGPRS)
	s_endpgm
	.section	.rodata,"a",@progbits
	.p2align	6, 0x0
	.amdhsa_kernel _Z30fast_hadamard_transform_kernelI37fast_hadamard_transform_kernel_traitsILi256ELi13EfEEv18HadamardParamsBase
		.amdhsa_group_segment_fixed_size 0
		.amdhsa_private_segment_fixed_size 0
		.amdhsa_kernarg_size 312
		.amdhsa_user_sgpr_count 15
		.amdhsa_user_sgpr_dispatch_ptr 0
		.amdhsa_user_sgpr_queue_ptr 0
		.amdhsa_user_sgpr_kernarg_segment_ptr 1
		.amdhsa_user_sgpr_dispatch_id 0
		.amdhsa_user_sgpr_private_segment_size 0
		.amdhsa_wavefront_size32 1
		.amdhsa_uses_dynamic_stack 0
		.amdhsa_enable_private_segment 0
		.amdhsa_system_sgpr_workgroup_id_x 1
		.amdhsa_system_sgpr_workgroup_id_y 0
		.amdhsa_system_sgpr_workgroup_id_z 0
		.amdhsa_system_sgpr_workgroup_info 0
		.amdhsa_system_vgpr_workitem_id 0
		.amdhsa_next_free_vgpr 70
		.amdhsa_next_free_sgpr 24
		.amdhsa_reserve_vcc 1
		.amdhsa_float_round_mode_32 0
		.amdhsa_float_round_mode_16_64 0
		.amdhsa_float_denorm_mode_32 3
		.amdhsa_float_denorm_mode_16_64 3
		.amdhsa_dx10_clamp 1
		.amdhsa_ieee_mode 1
		.amdhsa_fp16_overflow 0
		.amdhsa_workgroup_processor_mode 1
		.amdhsa_memory_ordered 1
		.amdhsa_forward_progress 0
		.amdhsa_shared_vgpr_count 0
		.amdhsa_exception_fp_ieee_invalid_op 0
		.amdhsa_exception_fp_denorm_src 0
		.amdhsa_exception_fp_ieee_div_zero 0
		.amdhsa_exception_fp_ieee_overflow 0
		.amdhsa_exception_fp_ieee_underflow 0
		.amdhsa_exception_fp_ieee_inexact 0
		.amdhsa_exception_int_div_zero 0
	.end_amdhsa_kernel
	.section	.text._Z30fast_hadamard_transform_kernelI37fast_hadamard_transform_kernel_traitsILi256ELi13EfEEv18HadamardParamsBase,"axG",@progbits,_Z30fast_hadamard_transform_kernelI37fast_hadamard_transform_kernel_traitsILi256ELi13EfEEv18HadamardParamsBase,comdat
.Lfunc_end10:
	.size	_Z30fast_hadamard_transform_kernelI37fast_hadamard_transform_kernel_traitsILi256ELi13EfEEv18HadamardParamsBase, .Lfunc_end10-_Z30fast_hadamard_transform_kernelI37fast_hadamard_transform_kernel_traitsILi256ELi13EfEEv18HadamardParamsBase
                                        ; -- End function
	.section	.AMDGPU.csdata,"",@progbits
; Kernel info:
; codeLenInByte = 8012
; NumSgprs: 26
; NumVgprs: 70
; ScratchSize: 0
; MemoryBound: 0
; FloatMode: 240
; IeeeMode: 1
; LDSByteSize: 0 bytes/workgroup (compile time only)
; SGPRBlocks: 3
; VGPRBlocks: 8
; NumSGPRsForWavesPerEU: 26
; NumVGPRsForWavesPerEU: 70
; Occupancy: 16
; WaveLimiterHint : 0
; COMPUTE_PGM_RSRC2:SCRATCH_EN: 0
; COMPUTE_PGM_RSRC2:USER_SGPR: 15
; COMPUTE_PGM_RSRC2:TRAP_HANDLER: 0
; COMPUTE_PGM_RSRC2:TGID_X_EN: 1
; COMPUTE_PGM_RSRC2:TGID_Y_EN: 0
; COMPUTE_PGM_RSRC2:TGID_Z_EN: 0
; COMPUTE_PGM_RSRC2:TIDIG_COMP_CNT: 0
	.section	.text._Z30fast_hadamard_transform_kernelI37fast_hadamard_transform_kernel_traitsILi256ELi14EfEEv18HadamardParamsBase,"axG",@progbits,_Z30fast_hadamard_transform_kernelI37fast_hadamard_transform_kernel_traitsILi256ELi14EfEEv18HadamardParamsBase,comdat
	.protected	_Z30fast_hadamard_transform_kernelI37fast_hadamard_transform_kernel_traitsILi256ELi14EfEEv18HadamardParamsBase ; -- Begin function _Z30fast_hadamard_transform_kernelI37fast_hadamard_transform_kernel_traitsILi256ELi14EfEEv18HadamardParamsBase
	.globl	_Z30fast_hadamard_transform_kernelI37fast_hadamard_transform_kernel_traitsILi256ELi14EfEEv18HadamardParamsBase
	.p2align	8
	.type	_Z30fast_hadamard_transform_kernelI37fast_hadamard_transform_kernel_traitsILi256ELi14EfEEv18HadamardParamsBase,@function
_Z30fast_hadamard_transform_kernelI37fast_hadamard_transform_kernel_traitsILi256ELi14EfEEv18HadamardParamsBase: ; @_Z30fast_hadamard_transform_kernelI37fast_hadamard_transform_kernel_traitsILi256ELi14EfEEv18HadamardParamsBase
; %bb.0:
	s_clause 0x3
	s_load_b128 s[24:27], s[0:1], 0x10
	s_load_b32 s29, s[0:1], 0x4
	s_load_b128 s[20:23], s[0:1], 0x28
	s_load_b32 s2, s[0:1], 0x44
	s_ashr_i32 s28, s15, 31
	v_dual_mov_b32 v5, 0 :: v_dual_lshlrev_b32 v2, 2, v0
	v_dual_mov_b32 v1, 0 :: v_dual_mov_b32 v6, 0
	v_dual_mov_b32 v7, 0 :: v_dual_lshlrev_b32 v82, 4, v0
	v_mov_b32_e32 v8, 0
	s_waitcnt lgkmcnt(0)
	s_mul_hi_u32 s3, s24, s15
	s_mul_i32 s4, s24, s28
	s_mul_i32 s5, s25, s15
	s_add_i32 s3, s3, s4
	s_mul_i32 s4, s24, s15
	s_add_i32 s5, s3, s5
	v_cmp_gt_u32_e64 s12, s29, v2
	s_lshl_b64 s[4:5], s[4:5], 2
	s_delay_alu instid0(SALU_CYCLE_1) | instskip(SKIP_1) | instid1(VALU_DEP_1)
	s_add_u32 s18, s20, s4
	s_addc_u32 s19, s21, s5
	s_and_saveexec_b32 s3, s12
	s_cbranch_execz .LBB11_2
; %bb.1:
	global_load_b128 v[5:8], v82, s[18:19]
.LBB11_2:
	s_or_b32 exec_lo, exec_lo, s3
	s_and_b32 s20, 0xffff, s2
	s_delay_alu instid0(SALU_CYCLE_1) | instskip(NEXT) | instid1(VALU_DEP_1)
	v_dual_mov_b32 v2, 0 :: v_dual_add_nc_u32 v9, s20, v0
	v_dual_mov_b32 v3, 0 :: v_dual_lshlrev_b32 v4, 2, v9
	v_lshlrev_b32_e32 v78, 4, v9
	s_delay_alu instid0(VALU_DEP_2) | instskip(SKIP_1) | instid1(VALU_DEP_2)
	v_cmp_gt_u32_e64 s8, s29, v4
	v_mov_b32_e32 v4, 0
	s_and_saveexec_b32 s2, s8
	s_cbranch_execz .LBB11_4
; %bb.3:
	global_load_b128 v[1:4], v78, s[18:19]
.LBB11_4:
	s_or_b32 exec_lo, exec_lo, s2
	v_dual_mov_b32 v9, 0 :: v_dual_add_nc_u32 v10, s20, v9
	v_mov_b32_e32 v13, 0
	v_dual_mov_b32 v15, 0 :: v_dual_mov_b32 v16, 0
	s_delay_alu instid0(VALU_DEP_3) | instskip(SKIP_1) | instid1(VALU_DEP_2)
	v_dual_mov_b32 v14, 0 :: v_dual_lshlrev_b32 v11, 2, v10
	v_lshlrev_b32_e32 v76, 4, v10
	v_cmp_gt_u32_e64 s6, s29, v11
	s_delay_alu instid0(VALU_DEP_1)
	s_and_saveexec_b32 s2, s6
	s_cbranch_execz .LBB11_6
; %bb.5:
	global_load_b128 v[13:16], v76, s[18:19]
.LBB11_6:
	s_or_b32 exec_lo, exec_lo, s2
	v_dual_mov_b32 v10, 0 :: v_dual_add_nc_u32 v17, s20, v10
	s_delay_alu instid0(VALU_DEP_1) | instskip(SKIP_1) | instid1(VALU_DEP_2)
	v_dual_mov_b32 v11, 0 :: v_dual_lshlrev_b32 v12, 2, v17
	v_lshlrev_b32_e32 v71, 4, v17
	v_cmp_gt_u32_e32 vcc_lo, s29, v12
	v_mov_b32_e32 v12, 0
	s_and_saveexec_b32 s2, vcc_lo
	s_cbranch_execz .LBB11_8
; %bb.7:
	global_load_b128 v[9:12], v71, s[18:19]
.LBB11_8:
	s_or_b32 exec_lo, exec_lo, s2
	v_dual_mov_b32 v17, 0 :: v_dual_add_nc_u32 v18, s20, v17
	v_mov_b32_e32 v21, 0
	v_dual_mov_b32 v23, 0 :: v_dual_mov_b32 v24, 0
	s_delay_alu instid0(VALU_DEP_3) | instskip(SKIP_1) | instid1(VALU_DEP_2)
	v_dual_mov_b32 v22, 0 :: v_dual_lshlrev_b32 v19, 2, v18
	v_lshlrev_b32_e32 v72, 4, v18
	v_cmp_gt_u32_e64 s2, s29, v19
	s_delay_alu instid0(VALU_DEP_1)
	s_and_saveexec_b32 s3, s2
	s_cbranch_execz .LBB11_10
; %bb.9:
	global_load_b128 v[21:24], v72, s[18:19]
.LBB11_10:
	s_or_b32 exec_lo, exec_lo, s3
	v_dual_mov_b32 v18, 0 :: v_dual_add_nc_u32 v25, s20, v18
	s_delay_alu instid0(VALU_DEP_1) | instskip(SKIP_1) | instid1(VALU_DEP_2)
	v_dual_mov_b32 v19, 0 :: v_dual_lshlrev_b32 v20, 2, v25
	v_lshlrev_b32_e32 v73, 4, v25
	v_cmp_gt_u32_e64 s3, s29, v20
	v_mov_b32_e32 v20, 0
	s_delay_alu instid0(VALU_DEP_2)
	s_and_saveexec_b32 s4, s3
	s_cbranch_execz .LBB11_12
; %bb.11:
	global_load_b128 v[17:20], v73, s[18:19]
.LBB11_12:
	s_or_b32 exec_lo, exec_lo, s4
	v_dual_mov_b32 v25, 0 :: v_dual_add_nc_u32 v26, s20, v25
	v_mov_b32_e32 v29, 0
	v_dual_mov_b32 v31, 0 :: v_dual_mov_b32 v32, 0
	s_delay_alu instid0(VALU_DEP_3) | instskip(SKIP_1) | instid1(VALU_DEP_2)
	v_dual_mov_b32 v30, 0 :: v_dual_lshlrev_b32 v27, 2, v26
	v_lshlrev_b32_e32 v74, 4, v26
	v_cmp_gt_u32_e64 s4, s29, v27
	s_delay_alu instid0(VALU_DEP_1)
	s_and_saveexec_b32 s5, s4
	s_cbranch_execz .LBB11_14
; %bb.13:
	global_load_b128 v[29:32], v74, s[18:19]
.LBB11_14:
	s_or_b32 exec_lo, exec_lo, s5
	v_dual_mov_b32 v26, 0 :: v_dual_add_nc_u32 v33, s20, v26
	s_delay_alu instid0(VALU_DEP_1) | instskip(SKIP_1) | instid1(VALU_DEP_2)
	v_dual_mov_b32 v27, 0 :: v_dual_lshlrev_b32 v28, 2, v33
	v_lshlrev_b32_e32 v75, 4, v33
	v_cmp_gt_u32_e64 s5, s29, v28
	v_mov_b32_e32 v28, 0
	s_delay_alu instid0(VALU_DEP_2)
	s_and_saveexec_b32 s7, s5
	s_cbranch_execz .LBB11_16
; %bb.15:
	global_load_b128 v[25:28], v75, s[18:19]
.LBB11_16:
	s_or_b32 exec_lo, exec_lo, s7
	v_dual_mov_b32 v33, 0 :: v_dual_add_nc_u32 v34, s20, v33
	v_dual_mov_b32 v37, 0 :: v_dual_mov_b32 v40, 0
	v_mov_b32_e32 v39, 0
	s_delay_alu instid0(VALU_DEP_3) | instskip(SKIP_1) | instid1(VALU_DEP_2)
	v_dual_mov_b32 v38, 0 :: v_dual_lshlrev_b32 v35, 2, v34
	v_lshlrev_b32_e32 v77, 4, v34
	v_cmp_gt_u32_e64 s7, s29, v35
	s_delay_alu instid0(VALU_DEP_1)
	s_and_saveexec_b32 s9, s7
	s_cbranch_execz .LBB11_18
; %bb.17:
	global_load_b128 v[37:40], v77, s[18:19]
.LBB11_18:
	s_or_b32 exec_lo, exec_lo, s9
	v_dual_mov_b32 v34, 0 :: v_dual_add_nc_u32 v41, s20, v34
	s_delay_alu instid0(VALU_DEP_1) | instskip(SKIP_1) | instid1(VALU_DEP_2)
	v_dual_mov_b32 v35, 0 :: v_dual_lshlrev_b32 v36, 2, v41
	v_lshlrev_b32_e32 v79, 4, v41
	v_cmp_gt_u32_e64 s9, s29, v36
	v_mov_b32_e32 v36, 0
	s_delay_alu instid0(VALU_DEP_2)
	s_and_saveexec_b32 s10, s9
	s_cbranch_execz .LBB11_20
; %bb.19:
	global_load_b128 v[33:36], v79, s[18:19]
.LBB11_20:
	s_or_b32 exec_lo, exec_lo, s10
	v_dual_mov_b32 v41, 0 :: v_dual_add_nc_u32 v42, s20, v41
	v_mov_b32_e32 v45, 0
	v_dual_mov_b32 v47, 0 :: v_dual_mov_b32 v48, 0
	s_delay_alu instid0(VALU_DEP_3) | instskip(SKIP_1) | instid1(VALU_DEP_2)
	v_dual_mov_b32 v46, 0 :: v_dual_lshlrev_b32 v43, 2, v42
	v_lshlrev_b32_e32 v80, 4, v42
	v_cmp_gt_u32_e64 s10, s29, v43
	s_delay_alu instid0(VALU_DEP_1)
	s_and_saveexec_b32 s11, s10
	s_cbranch_execz .LBB11_22
; %bb.21:
	global_load_b128 v[45:48], v80, s[18:19]
.LBB11_22:
	s_or_b32 exec_lo, exec_lo, s11
	v_dual_mov_b32 v42, 0 :: v_dual_add_nc_u32 v49, s20, v42
	s_delay_alu instid0(VALU_DEP_1) | instskip(SKIP_1) | instid1(VALU_DEP_2)
	v_dual_mov_b32 v43, 0 :: v_dual_lshlrev_b32 v44, 2, v49
	v_lshlrev_b32_e32 v81, 4, v49
	v_cmp_gt_u32_e64 s11, s29, v44
	v_mov_b32_e32 v44, 0
	s_delay_alu instid0(VALU_DEP_2)
	s_and_saveexec_b32 s13, s11
	s_cbranch_execz .LBB11_24
; %bb.23:
	global_load_b128 v[41:44], v81, s[18:19]
.LBB11_24:
	s_or_b32 exec_lo, exec_lo, s13
	v_dual_mov_b32 v53, 0 :: v_dual_add_nc_u32 v54, s20, v49
	v_dual_mov_b32 v50, 0 :: v_dual_mov_b32 v51, 0
	s_delay_alu instid0(VALU_DEP_2) | instskip(SKIP_1) | instid1(VALU_DEP_2)
	v_dual_mov_b32 v49, 0 :: v_dual_lshlrev_b32 v52, 2, v54
	v_lshlrev_b32_e32 v83, 4, v54
	v_cmp_gt_u32_e64 s13, s29, v52
	v_mov_b32_e32 v52, 0
	s_delay_alu instid0(VALU_DEP_2)
	s_and_saveexec_b32 s14, s13
	s_cbranch_execz .LBB11_26
; %bb.25:
	global_load_b128 v[49:52], v83, s[18:19]
.LBB11_26:
	s_or_b32 exec_lo, exec_lo, s14
	v_dual_mov_b32 v54, 0 :: v_dual_add_nc_u32 v67, s20, v54
	s_delay_alu instid0(VALU_DEP_1) | instskip(NEXT) | instid1(VALU_DEP_1)
	v_dual_mov_b32 v55, 0 :: v_dual_lshlrev_b32 v56, 2, v67
	v_cmp_gt_u32_e64 s14, s29, v56
	v_mov_b32_e32 v56, 0
	s_delay_alu instid0(VALU_DEP_2)
	s_and_saveexec_b32 s17, s14
	s_cbranch_execz .LBB11_28
; %bb.27:
	v_mov_b32_e32 v68, 0
	s_delay_alu instid0(VALU_DEP_1) | instskip(NEXT) | instid1(VALU_DEP_1)
	v_lshlrev_b64 v[53:54], 4, v[67:68]
	v_add_co_u32 v53, s16, s18, v53
	s_delay_alu instid0(VALU_DEP_1)
	v_add_co_ci_u32_e64 v54, s16, s19, v54, s16
	global_load_b128 v[53:56], v[53:54], off
.LBB11_28:
	s_or_b32 exec_lo, exec_lo, s17
	v_dual_mov_b32 v62, 0 :: v_dual_add_nc_u32 v65, s20, v67
	v_dual_mov_b32 v61, 0 :: v_dual_mov_b32 v64, 0
	s_delay_alu instid0(VALU_DEP_2) | instskip(SKIP_1) | instid1(VALU_DEP_2)
	v_dual_mov_b32 v63, 0 :: v_dual_lshlrev_b32 v58, 2, v65
	v_mov_b32_e32 v57, 0
	v_cmp_gt_u32_e64 s16, s29, v58
	s_delay_alu instid0(VALU_DEP_1)
	s_and_saveexec_b32 s21, s16
	s_cbranch_execz .LBB11_30
; %bb.29:
	v_mov_b32_e32 v66, 0
	s_delay_alu instid0(VALU_DEP_1) | instskip(NEXT) | instid1(VALU_DEP_1)
	v_lshlrev_b64 v[58:59], 4, v[65:66]
	v_add_co_u32 v58, s17, s18, v58
	s_delay_alu instid0(VALU_DEP_1)
	v_add_co_ci_u32_e64 v59, s17, s19, v59, s17
	global_load_b128 v[61:64], v[58:59], off
.LBB11_30:
	s_or_b32 exec_lo, exec_lo, s21
	v_dual_mov_b32 v58, 0 :: v_dual_add_nc_u32 v69, s20, v65
	s_delay_alu instid0(VALU_DEP_1) | instskip(NEXT) | instid1(VALU_DEP_1)
	v_dual_mov_b32 v59, 0 :: v_dual_lshlrev_b32 v60, 2, v69
	v_cmp_gt_u32_e64 s17, s29, v60
	v_mov_b32_e32 v60, 0
	s_delay_alu instid0(VALU_DEP_2)
	s_and_saveexec_b32 s20, s17
	s_cbranch_execz .LBB11_32
; %bb.31:
	v_mov_b32_e32 v70, 0
	s_delay_alu instid0(VALU_DEP_1) | instskip(NEXT) | instid1(VALU_DEP_1)
	v_lshlrev_b64 v[57:58], 4, v[69:70]
	v_add_co_u32 v57, s18, s18, v57
	s_delay_alu instid0(VALU_DEP_1)
	v_add_co_ci_u32_e64 v58, s18, s19, v58, s18
	global_load_b128 v[57:60], v[57:58], off
.LBB11_32:
	s_or_b32 exec_lo, exec_lo, s20
	s_waitcnt vmcnt(0)
	v_add_f32_e32 v66, v5, v6
	v_sub_f32_e32 v5, v5, v6
	v_add_f32_e32 v6, v1, v2
	v_sub_f32_e32 v1, v1, v2
	;; [unrolled: 2-line block ×12, first 2 shown]
	v_add_f32_e32 v42, v49, v50
	v_dual_sub_f32 v49, v49, v50 :: v_dual_add_f32 v50, v7, v8
	v_dual_sub_f32 v7, v7, v8 :: v_dual_add_f32 v8, v53, v54
	;; [unrolled: 1-line block ×7, first 2 shown]
	v_sub_f32_e32 v11, v11, v12
	v_add_f32_e32 v12, v23, v24
	v_sub_f32_e32 v23, v23, v24
	v_add_f32_e32 v24, v19, v20
	;; [unrolled: 2-line block ×12, first 2 shown]
	v_dual_sub_f32 v59, v59, v60 :: v_dual_add_f32 v60, v66, v50
	v_sub_f32_e32 v50, v66, v50
	v_add_f32_e32 v66, v6, v54
	v_sub_f32_e32 v6, v6, v54
	v_add_f32_e32 v54, v2, v62
	v_sub_f32_e32 v2, v2, v62
	v_add_f32_e32 v62, v14, v58
	v_sub_f32_e32 v14, v14, v58
	v_add_f32_e32 v58, v10, v12
	v_sub_f32_e32 v10, v10, v12
	v_add_f32_e32 v12, v22, v24
	v_sub_f32_e32 v22, v22, v24
	v_add_f32_e32 v24, v18, v20
	v_sub_f32_e32 v18, v18, v20
	v_add_f32_e32 v20, v30, v32
	v_sub_f32_e32 v30, v30, v32
	v_add_f32_e32 v32, v26, v28
	v_sub_f32_e32 v26, v26, v28
	v_add_f32_e32 v28, v38, v40
	v_sub_f32_e32 v38, v38, v40
	v_add_f32_e32 v40, v34, v36
	v_sub_f32_e32 v34, v34, v36
	v_add_f32_e32 v36, v46, v48
	v_sub_f32_e32 v46, v46, v48
	v_add_f32_e32 v48, v42, v44
	v_sub_f32_e32 v42, v42, v44
	v_add_f32_e32 v44, v8, v52
	v_sub_f32_e32 v8, v8, v52
	v_add_f32_e32 v52, v4, v56
	v_sub_f32_e32 v56, v4, v56
	v_mbcnt_lo_u32_b32 v4, -1, 0
	v_add_f32_e32 v68, v16, v64
	v_sub_f32_e32 v16, v16, v64
	v_add_f32_e32 v64, v5, v7
	v_sub_f32_e32 v5, v5, v7
	;; [unrolled: 2-line block ×3, first 2 shown]
	v_xor_b32_e32 v1, 1, v4
	s_load_b32 s21, s[0:1], 0x20
	s_waitcnt lgkmcnt(0)
	s_barrier
	buffer_gl0_inv
	v_cmp_gt_i32_e64 s0, 32, v1
	s_delay_alu instid0(VALU_DEP_1) | instskip(NEXT) | instid1(VALU_DEP_1)
	v_cndmask_b32_e64 v1, v4, v1, s0
	v_lshlrev_b32_e32 v1, 2, v1
	ds_bpermute_b32 v84, v1, v60
	v_add_f32_e32 v70, v13, v15
	v_sub_f32_e32 v13, v13, v15
	v_add_f32_e32 v15, v9, v11
	v_sub_f32_e32 v9, v9, v11
	;; [unrolled: 2-line block ×9, first 2 shown]
	v_and_b32_e32 v47, 1, v0
	ds_bpermute_b32 v85, v1, v64
	v_add_f32_e32 v86, v41, v43
	v_sub_f32_e32 v41, v41, v43
	v_add_f32_e32 v43, v49, v51
	v_cmp_eq_u32_e64 s0, 0, v47
	v_sub_f32_e32 v49, v49, v51
	v_add_f32_e32 v47, v53, v55
	v_sub_f32_e32 v51, v53, v55
	ds_bpermute_b32 v87, v1, v5
	v_cndmask_b32_e64 v55, -v60, v60, s0
	v_cndmask_b32_e64 v60, -v64, v64, s0
	ds_bpermute_b32 v64, v1, v50
	v_add_f32_e32 v53, v61, v63
	ds_bpermute_b32 v88, v1, v66
	ds_bpermute_b32 v89, v1, v7
	ds_bpermute_b32 v90, v1, v6
	v_sub_f32_e32 v61, v61, v63
	v_add_f32_e32 v63, v57, v59
	v_sub_f32_e32 v57, v57, v59
	s_waitcnt lgkmcnt(6)
	v_add_f32_e32 v55, v55, v84
	s_waitcnt lgkmcnt(5)
	v_add_f32_e32 v59, v60, v85
	v_cndmask_b32_e64 v50, -v50, v50, s0
	v_cndmask_b32_e64 v5, -v5, v5, s0
	;; [unrolled: 1-line block ×3, first 2 shown]
	ds_bpermute_b32 v66, v1, v3
	ds_bpermute_b32 v85, v1, v70
	;; [unrolled: 1-line block ×5, first 2 shown]
	s_waitcnt lgkmcnt(9)
	v_add_f32_e32 v5, v5, v87
	v_cndmask_b32_e64 v3, -v3, v3, s0
	s_waitcnt lgkmcnt(8)
	v_add_f32_e32 v50, v50, v64
	v_cndmask_b32_e64 v64, -v70, v70, s0
	ds_bpermute_b32 v70, v1, v62
	ds_bpermute_b32 v87, v1, v15
	v_cndmask_b32_e64 v7, -v7, v7, s0
	v_cndmask_b32_e64 v6, -v6, v6, s0
	;; [unrolled: 1-line block ×5, first 2 shown]
	s_waitcnt lgkmcnt(7)
	v_dual_add_f32 v7, v7, v89 :: v_dual_add_f32 v6, v6, v90
	ds_bpermute_b32 v89, v1, v9
	v_cndmask_b32_e64 v15, -v15, v15, s0
	v_add_f32_e32 v60, v60, v88
	ds_bpermute_b32 v88, v1, v14
	s_waitcnt lgkmcnt(8)
	v_add_f32_e32 v3, v3, v66
	s_waitcnt lgkmcnt(5)
	v_add_f32_e32 v13, v13, v92
	ds_bpermute_b32 v92, v1, v23
	v_add_f32_e32 v64, v64, v85
	ds_bpermute_b32 v85, v1, v21
	v_add_f32_e32 v66, v2, v91
	v_cndmask_b32_e64 v2, -v62, v62, s0
	ds_bpermute_b32 v62, v1, v11
	v_cndmask_b32_e64 v9, -v9, v9, s0
	s_waitcnt lgkmcnt(7)
	v_add_f32_e32 v54, v54, v84
	ds_bpermute_b32 v84, v1, v10
	s_waitcnt lgkmcnt(6)
	v_add_f32_e32 v15, v15, v87
	ds_bpermute_b32 v87, v1, v17
	v_cndmask_b32_e64 v17, -v17, v17, s0
	v_add_f32_e32 v70, v2, v70
	v_cndmask_b32_e64 v2, -v11, v11, s0
	v_cndmask_b32_e64 v11, -v21, v21, s0
	v_cndmask_b32_e64 v21, -v23, v23, s0
	ds_bpermute_b32 v23, v1, v22
	v_cndmask_b32_e64 v14, -v14, v14, s0
	s_waitcnt lgkmcnt(7)
	v_add_f32_e32 v9, v9, v89
	v_cndmask_b32_e64 v10, -v10, v10, s0
	ds_bpermute_b32 v89, v1, v19
	s_waitcnt lgkmcnt(6)
	v_add_f32_e32 v21, v21, v92
	v_cndmask_b32_e64 v19, -v19, v19, s0
	v_add_f32_e32 v14, v14, v88
	ds_bpermute_b32 v88, v1, v24
	ds_bpermute_b32 v92, v1, v25
	v_cndmask_b32_e64 v25, -v25, v25, s0
	s_waitcnt lgkmcnt(6)
	v_add_f32_e32 v62, v2, v62
	v_cndmask_b32_e64 v2, -v22, v22, s0
	v_cndmask_b32_e64 v22, -v24, v24, s0
	ds_bpermute_b32 v24, v1, v29
	ds_bpermute_b32 v91, v1, v12
	v_add_f32_e32 v11, v11, v85
	ds_bpermute_b32 v85, v1, v31
	s_waitcnt lgkmcnt(7)
	v_add_f32_e32 v17, v17, v87
	ds_bpermute_b32 v87, v1, v27
	v_cndmask_b32_e64 v27, -v27, v27, s0
	v_add_f32_e32 v10, v10, v84
	ds_bpermute_b32 v84, v1, v20
	v_cndmask_b32_e64 v20, -v20, v20, s0
	s_waitcnt lgkmcnt(8)
	v_add_f32_e32 v23, v2, v23
	v_cndmask_b32_e64 v2, -v29, v29, s0
	v_cndmask_b32_e64 v29, -v31, v31, s0
	ds_bpermute_b32 v31, v1, v32
	ds_bpermute_b32 v90, v1, v58
	v_cndmask_b32_e64 v12, -v12, v12, s0
	v_cndmask_b32_e64 v58, -v58, v58, s0
	s_waitcnt lgkmcnt(9)
	v_add_f32_e32 v19, v19, v89
	ds_bpermute_b32 v89, v1, v37
	s_waitcnt lgkmcnt(8)
	v_add_f32_e32 v25, v25, v92
	s_waitcnt lgkmcnt(7)
	v_add_f32_e32 v24, v2, v24
	v_cndmask_b32_e64 v2, -v32, v32, s0
	v_cndmask_b32_e64 v32, -v37, v37, s0
	ds_bpermute_b32 v37, v1, v39
	s_waitcnt lgkmcnt(6)
	v_add_f32_e32 v29, v29, v85
	ds_bpermute_b32 v85, v1, v33
	ds_bpermute_b32 v92, v1, v35
	s_waitcnt lgkmcnt(6)
	v_dual_add_f32 v27, v27, v87 :: v_dual_add_f32 v20, v20, v84
	ds_bpermute_b32 v84, v1, v38
	v_cndmask_b32_e64 v38, -v38, v38, s0
	v_cndmask_b32_e64 v33, -v33, v33, s0
	;; [unrolled: 1-line block ×3, first 2 shown]
	s_waitcnt lgkmcnt(6)
	v_add_f32_e32 v31, v2, v31
	v_cndmask_b32_e64 v2, -v39, v39, s0
	v_add_f32_e32 v12, v12, v91
	ds_bpermute_b32 v91, v1, v30
	s_waitcnt lgkmcnt(6)
	v_add_f32_e32 v58, v58, v90
	ds_bpermute_b32 v90, v1, v18
	v_cndmask_b32_e64 v30, -v30, v30, s0
	v_cndmask_b32_e64 v18, -v18, v18, s0
	s_waitcnt lgkmcnt(6)
	v_add_f32_e32 v32, v32, v89
	v_cndmask_b32_e64 v39, -v40, v40, s0
	ds_bpermute_b32 v87, v1, v45
	ds_bpermute_b32 v89, v1, v86
	s_waitcnt lgkmcnt(6)
	v_dual_add_f32 v22, v22, v88 :: v_dual_add_f32 v33, v33, v85
	ds_bpermute_b32 v88, v1, v26
	v_add_f32_e32 v37, v2, v37
	v_cndmask_b32_e64 v2, -v34, v34, s0
	ds_bpermute_b32 v85, v1, v48
	v_cndmask_b32_e64 v26, -v26, v26, s0
	s_waitcnt lgkmcnt(7)
	v_add_f32_e32 v35, v35, v92
	ds_bpermute_b32 v92, v1, v49
	v_cndmask_b32_e64 v49, -v49, v49, s0
	s_waitcnt lgkmcnt(6)
	v_add_f32_e32 v30, v30, v91
	ds_bpermute_b32 v91, v1, v40
	ds_bpermute_b32 v40, v1, v34
	s_waitcnt lgkmcnt(7)
	v_add_f32_e32 v18, v18, v90
	ds_bpermute_b32 v90, v1, v28
	v_cndmask_b32_e64 v34, -v45, v45, s0
	v_cndmask_b32_e64 v45, -v86, v86, s0
	ds_bpermute_b32 v86, v1, v43
	v_cndmask_b32_e64 v43, -v43, v43, s0
	v_add_f32_e32 v38, v38, v84
	ds_bpermute_b32 v84, v1, v41
	v_cndmask_b32_e64 v28, -v28, v28, s0
	s_waitcnt lgkmcnt(8)
	v_add_f32_e32 v45, v45, v89
	ds_bpermute_b32 v89, v1, v51
	v_cndmask_b32_e64 v51, -v51, v51, s0
	v_add_f32_e32 v34, v34, v87
	ds_bpermute_b32 v87, v1, v47
	v_cndmask_b32_e64 v47, -v47, v47, s0
	s_waitcnt lgkmcnt(7)
	v_add_f32_e32 v49, v49, v92
	s_waitcnt lgkmcnt(5)
	v_dual_add_f32 v39, v39, v91 :: v_dual_add_f32 v40, v2, v40
	v_cndmask_b32_e64 v2, -v41, v41, s0
	v_cndmask_b32_e64 v41, -v48, v48, s0
	v_add_f32_e32 v26, v26, v88
	s_waitcnt lgkmcnt(4)
	v_add_f32_e32 v28, v28, v90
	ds_bpermute_b32 v88, v1, v36
	ds_bpermute_b32 v90, v1, v46
	;; [unrolled: 1-line block ×3, first 2 shown]
	s_waitcnt lgkmcnt(5)
	v_dual_add_f32 v84, v2, v84 :: v_dual_add_f32 v41, v41, v85
	v_cndmask_b32_e64 v2, -v44, v44, s0
	ds_bpermute_b32 v44, v1, v53
	ds_bpermute_b32 v85, v1, v56
	ds_bpermute_b32 v91, v1, v42
	v_cndmask_b32_e64 v36, -v36, v36, s0
	v_cndmask_b32_e64 v46, -v46, v46, s0
	;; [unrolled: 1-line block ×4, first 2 shown]
	v_add_f32_e32 v43, v43, v86
	s_waitcnt lgkmcnt(6)
	v_add_f32_e32 v47, v47, v87
	ds_bpermute_b32 v86, v1, v61
	ds_bpermute_b32 v87, v1, v68
	v_cndmask_b32_e64 v42, -v42, v42, s0
	v_add_f32_e32 v51, v51, v89
	ds_bpermute_b32 v89, v1, v16
	v_cndmask_b32_e64 v16, -v16, v16, s0
	s_waitcnt lgkmcnt(7)
	v_add_f32_e32 v46, v46, v90
	s_waitcnt lgkmcnt(6)
	v_add_f32_e32 v48, v2, v48
	v_xor_b32_e32 v2, 2, v4
	ds_bpermute_b32 v90, v1, v52
	v_cndmask_b32_e64 v52, -v52, v52, s0
	s_waitcnt lgkmcnt(5)
	v_dual_add_f32 v44, v53, v44 :: v_dual_add_f32 v53, v56, v85
	v_cndmask_b32_e64 v56, -v61, v61, s0
	v_cndmask_b32_e64 v61, -v68, v68, s0
	v_add_f32_e32 v36, v36, v88
	ds_bpermute_b32 v88, v1, v8
	ds_bpermute_b32 v68, v1, v57
	v_cmp_gt_i32_e64 s1, 32, v2
	s_waitcnt lgkmcnt(6)
	v_dual_add_f32 v42, v42, v91 :: v_dual_and_b32 v85, 2, v0
	v_cndmask_b32_e64 v8, -v8, v8, s0
	v_cndmask_b32_e64 v57, -v57, v57, s0
	v_cndmask_b32_e64 v2, v4, v2, s1
	s_waitcnt lgkmcnt(4)
	v_add_f32_e32 v61, v61, v87
	v_cmp_eq_u32_e64 s1, 0, v85
	s_waitcnt lgkmcnt(0)
	v_dual_add_f32 v57, v57, v68 :: v_dual_lshlrev_b32 v2, 2, v2
	ds_bpermute_b32 v93, v2, v5
	v_cndmask_b32_e64 v5, -v5, v5, s1
	v_add_f32_e32 v8, v8, v88
	ds_bpermute_b32 v88, v1, v63
	v_cndmask_b32_e64 v63, -v63, v63, s0
	v_add_f32_e32 v52, v52, v90
	ds_bpermute_b32 v90, v2, v55
	ds_bpermute_b32 v91, v2, v59
	;; [unrolled: 1-line block ×3, first 2 shown]
	v_cndmask_b32_e64 v55, -v55, v55, s1
	ds_bpermute_b32 v85, v2, v60
	ds_bpermute_b32 v87, v2, v6
	;; [unrolled: 1-line block ×3, first 2 shown]
	v_cndmask_b32_e64 v59, -v59, v59, s1
	v_cndmask_b32_e64 v50, -v50, v50, s1
	;; [unrolled: 1-line block ×4, first 2 shown]
	s_waitcnt lgkmcnt(7)
	v_add_f32_e32 v5, v5, v93
	ds_bpermute_b32 v93, v2, v15
	v_cndmask_b32_e64 v15, -v15, v15, s1
	s_waitcnt lgkmcnt(7)
	v_add_f32_e32 v63, v63, v88
	ds_bpermute_b32 v88, v2, v3
	v_cndmask_b32_e64 v3, -v3, v3, s1
	v_add_f32_e32 v56, v56, v86
	ds_bpermute_b32 v86, v2, v7
	s_waitcnt lgkmcnt(8)
	v_add_f32_e32 v55, v55, v90
	ds_bpermute_b32 v90, v2, v66
	v_cndmask_b32_e64 v7, -v7, v7, s1
	s_waitcnt lgkmcnt(7)
	v_dual_add_f32 v59, v59, v91 :: v_dual_add_f32 v50, v50, v92
	ds_bpermute_b32 v91, v2, v13
	ds_bpermute_b32 v92, v2, v70
	v_cndmask_b32_e64 v13, -v13, v13, s1
	v_add_f32_e32 v16, v16, v89
	ds_bpermute_b32 v89, v2, v54
	v_cndmask_b32_e64 v54, -v54, v54, s1
	s_waitcnt lgkmcnt(6)
	v_add_f32_e32 v15, v15, v93
	ds_bpermute_b32 v93, v2, v17
	v_cndmask_b32_e64 v17, -v17, v17, s1
	s_waitcnt lgkmcnt(5)
	v_add_f32_e32 v7, v7, v86
	ds_bpermute_b32 v86, v2, v9
	v_cndmask_b32_e64 v9, -v9, v9, s1
	v_dual_add_f32 v60, v60, v85 :: v_dual_add_f32 v85, v3, v88
	v_cndmask_b32_e64 v3, -v64, v64, s1
	v_cndmask_b32_e64 v64, -v66, v66, s1
	;; [unrolled: 1-line block ×3, first 2 shown]
	ds_bpermute_b32 v70, v2, v14
	ds_bpermute_b32 v88, v2, v62
	v_add_f32_e32 v68, v3, v68
	s_waitcnt lgkmcnt(7)
	v_add_f32_e32 v64, v64, v90
	v_cndmask_b32_e64 v3, -v14, v14, s1
	v_cndmask_b32_e64 v14, -v58, v58, s1
	ds_bpermute_b32 v90, v2, v12
	v_add_f32_e32 v6, v6, v87
	ds_bpermute_b32 v87, v2, v58
	v_cndmask_b32_e64 v58, -v62, v62, s1
	ds_bpermute_b32 v62, v2, v11
	s_waitcnt lgkmcnt(9)
	v_add_f32_e32 v13, v13, v91
	ds_bpermute_b32 v91, v2, v21
	s_waitcnt lgkmcnt(6)
	v_add_f32_e32 v9, v9, v86
	ds_bpermute_b32 v86, v2, v19
	v_cndmask_b32_e64 v19, -v19, v19, s1
	v_add_f32_e32 v66, v66, v92
	ds_bpermute_b32 v92, v2, v23
	v_add_f32_e32 v17, v17, v93
	ds_bpermute_b32 v93, v2, v27
	s_waitcnt lgkmcnt(8)
	v_add_f32_e32 v70, v3, v70
	v_cndmask_b32_e64 v3, -v11, v11, s1
	v_cndmask_b32_e64 v11, -v12, v12, s1
	;; [unrolled: 1-line block ×4, first 2 shown]
	ds_bpermute_b32 v23, v2, v22
	v_add_f32_e32 v54, v54, v89
	ds_bpermute_b32 v89, v2, v10
	v_cndmask_b32_e64 v27, -v27, v27, s1
	s_waitcnt lgkmcnt(9)
	v_add_f32_e32 v58, v58, v88
	ds_bpermute_b32 v88, v2, v24
	s_waitcnt lgkmcnt(7)
	v_add_f32_e32 v62, v3, v62
	v_cndmask_b32_e64 v3, -v22, v22, s1
	v_cndmask_b32_e64 v22, -v24, v24, s1
	ds_bpermute_b32 v24, v2, v29
	v_cndmask_b32_e64 v10, -v10, v10, s1
	v_add_f32_e32 v11, v11, v90
	s_waitcnt lgkmcnt(5)
	v_add_f32_e32 v21, v21, v92
	ds_bpermute_b32 v90, v2, v30
	ds_bpermute_b32 v92, v2, v31
	v_add_f32_e32 v19, v19, v86
	ds_bpermute_b32 v86, v2, v32
	s_waitcnt lgkmcnt(7)
	v_add_f32_e32 v27, v27, v93
	ds_bpermute_b32 v93, v2, v34
	v_cndmask_b32_e64 v34, -v34, v34, s1
	s_waitcnt lgkmcnt(7)
	v_add_f32_e32 v23, v3, v23
	v_cndmask_b32_e64 v3, -v29, v29, s1
	v_cndmask_b32_e64 v29, -v30, v30, s1
	;; [unrolled: 1-line block ×3, first 2 shown]
	ds_bpermute_b32 v31, v2, v26
	v_add_f32_e32 v14, v14, v87
	s_waitcnt lgkmcnt(6)
	v_add_f32_e32 v22, v22, v88
	ds_bpermute_b32 v88, v2, v37
	ds_bpermute_b32 v87, v2, v18
	s_waitcnt lgkmcnt(7)
	v_add_f32_e32 v24, v3, v24
	v_cndmask_b32_e64 v3, -v26, v26, s1
	v_add_f32_e32 v10, v10, v89
	ds_bpermute_b32 v89, v2, v20
	v_cndmask_b32_e64 v20, -v20, v20, s1
	s_waitcnt lgkmcnt(7)
	v_add_f32_e32 v29, v29, v90
	v_cndmask_b32_e64 v26, -v32, v32, s1
	v_cndmask_b32_e64 v32, -v37, v37, s1
	v_cndmask_b32_e64 v37, -v38, v38, s1
	ds_bpermute_b32 v90, v2, v39
	v_cndmask_b32_e64 v18, -v18, v18, s1
	s_waitcnt lgkmcnt(4)
	v_add_f32_e32 v31, v3, v31
	v_cndmask_b32_e64 v3, -v33, v33, s1
	s_waitcnt lgkmcnt(1)
	v_add_f32_e32 v20, v20, v89
	ds_bpermute_b32 v89, v2, v38
	ds_bpermute_b32 v38, v2, v33
	v_cndmask_b32_e64 v33, -v39, v39, s1
	v_add_f32_e32 v12, v12, v91
	ds_bpermute_b32 v91, v2, v25
	v_cndmask_b32_e64 v25, -v25, v25, s1
	v_cndmask_b32_e64 v39, -v40, v40, s1
	s_waitcnt lgkmcnt(3)
	v_add_f32_e32 v33, v33, v90
	ds_bpermute_b32 v90, v2, v42
	v_cndmask_b32_e64 v42, -v42, v42, s1
	s_waitcnt lgkmcnt(3)
	v_add_f32_e32 v37, v37, v89
	ds_bpermute_b32 v89, v2, v41
	v_cndmask_b32_e64 v41, -v41, v41, s1
	s_waitcnt lgkmcnt(2)
	v_dual_add_f32 v38, v3, v38 :: v_dual_add_f32 v25, v25, v91
	ds_bpermute_b32 v91, v2, v35
	v_cndmask_b32_e64 v35, -v35, v35, s1
	v_cndmask_b32_e64 v3, -v36, v36, s1
	s_waitcnt lgkmcnt(2)
	v_add_f32_e32 v42, v42, v90
	ds_bpermute_b32 v90, v2, v56
	v_add_f32_e32 v34, v34, v93
	ds_bpermute_b32 v93, v2, v47
	v_cndmask_b32_e64 v47, -v47, v47, s1
	v_add_f32_e32 v26, v26, v86
	ds_bpermute_b32 v86, v2, v45
	s_waitcnt lgkmcnt(4)
	v_add_f32_e32 v41, v41, v89
	ds_bpermute_b32 v89, v2, v53
	s_waitcnt lgkmcnt(4)
	v_add_f32_e32 v35, v35, v91
	ds_bpermute_b32 v91, v2, v49
	v_cndmask_b32_e64 v49, -v49, v49, s1
	v_add_f32_e32 v30, v30, v92
	ds_bpermute_b32 v92, v2, v40
	v_add_f32_e32 v18, v18, v87
	ds_bpermute_b32 v87, v2, v28
	v_cndmask_b32_e64 v28, -v28, v28, s1
	ds_bpermute_b32 v40, v2, v36
	v_cndmask_b32_e64 v36, -v45, v45, s1
	v_cndmask_b32_e64 v45, -v46, v46, s1
	s_waitcnt lgkmcnt(5)
	s_delay_alu instid0(VALU_DEP_2)
	v_dual_add_f32 v47, v47, v93 :: v_dual_add_f32 v36, v36, v86
	ds_bpermute_b32 v86, v2, v51
	s_waitcnt lgkmcnt(4)
	v_add_f32_e32 v49, v49, v91
	ds_bpermute_b32 v91, v2, v61
	s_waitcnt lgkmcnt(4)
	v_add_f32_e32 v39, v39, v92
	;; [unrolled: 3-line block ×3, first 2 shown]
	ds_bpermute_b32 v87, v2, v46
	ds_bpermute_b32 v46, v2, v43
	v_cndmask_b32_e64 v48, -v48, v48, s1
	s_waitcnt lgkmcnt(1)
	v_add_f32_e32 v45, v45, v87
	ds_bpermute_b32 v87, v2, v52
	v_cndmask_b32_e64 v52, -v52, v52, s1
	s_waitcnt lgkmcnt(0)
	s_delay_alu instid0(VALU_DEP_1)
	v_add_f32_e32 v52, v52, v87
	ds_bpermute_b32 v87, v2, v57
	v_cndmask_b32_e64 v57, -v57, v57, s1
	v_add_f32_e32 v40, v3, v40
	v_cndmask_b32_e64 v3, -v43, v43, s1
	ds_bpermute_b32 v43, v2, v8
	v_add_f32_e32 v46, v3, v46
	v_cndmask_b32_e64 v3, -v8, v8, s1
	v_cndmask_b32_e64 v8, -v51, v51, s1
	v_xor_b32_e32 v51, 4, v4
	v_add_f32_e32 v32, v32, v88
	ds_bpermute_b32 v88, v2, v84
	v_cndmask_b32_e64 v84, -v84, v84, s1
	v_cmp_gt_i32_e64 s18, 32, v51
	s_waitcnt lgkmcnt(2)
	v_add_f32_e32 v57, v57, v87
	s_waitcnt lgkmcnt(1)
	v_add_f32_e32 v43, v3, v43
	v_cndmask_b32_e64 v3, v4, v51, s18
	v_cndmask_b32_e64 v51, -v53, v53, s1
	v_cndmask_b32_e64 v53, -v56, v56, s1
	;; [unrolled: 1-line block ×3, first 2 shown]
	ds_bpermute_b32 v61, v2, v63
	v_lshlrev_b32_e32 v3, 2, v3
	v_add_f32_e32 v51, v51, v89
	v_cndmask_b32_e64 v63, -v63, v63, s1
	v_add_f32_e32 v53, v53, v90
	ds_bpermute_b32 v93, v3, v55
	ds_bpermute_b32 v94, v3, v59
	v_add_f32_e32 v48, v48, v92
	v_and_b32_e32 v92, 4, v0
	ds_bpermute_b32 v89, v3, v5
	ds_bpermute_b32 v87, v3, v68
	;; [unrolled: 1-line block ×3, first 2 shown]
	v_cmp_eq_u32_e64 s18, 0, v92
	ds_bpermute_b32 v92, v3, v6
	v_cndmask_b32_e64 v55, -v55, v55, s18
	s_waitcnt lgkmcnt(7)
	v_add_f32_e32 v84, v84, v88
	v_cndmask_b32_e64 v5, -v5, v5, s18
	ds_bpermute_b32 v88, v2, v44
	v_cndmask_b32_e64 v44, -v44, v44, s1
	v_cndmask_b32_e64 v59, -v59, v59, s18
	s_waitcnt lgkmcnt(7)
	v_add_f32_e32 v61, v63, v61
	s_waitcnt lgkmcnt(6)
	v_add_f32_e32 v55, v55, v93
	ds_bpermute_b32 v93, v3, v64
	v_cndmask_b32_e64 v64, -v64, v64, s18
	s_waitcnt lgkmcnt(6)
	v_add_f32_e32 v59, v59, v94
	s_waitcnt lgkmcnt(5)
	v_add_f32_e32 v5, v5, v89
	ds_bpermute_b32 v89, v3, v15
	v_cndmask_b32_e64 v15, -v15, v15, s18
	ds_bpermute_b32 v94, v3, v13
	v_cndmask_b32_e64 v13, -v13, v13, s18
	ds_bpermute_b32 v63, v3, v85
	v_cndmask_b32_e64 v85, -v85, v85, s18
	v_add_f32_e32 v8, v8, v86
	ds_bpermute_b32 v86, v2, v16
	v_cndmask_b32_e64 v16, -v16, v16, s1
	v_cndmask_b32_e64 v68, -v68, v68, s18
	;; [unrolled: 1-line block ×4, first 2 shown]
	s_waitcnt lgkmcnt(4)
	v_add_f32_e32 v64, v64, v93
	ds_bpermute_b32 v93, v3, v11
	v_cndmask_b32_e64 v11, -v11, v11, s18
	v_add_f32_e32 v56, v56, v91
	ds_bpermute_b32 v91, v3, v7
	v_cndmask_b32_e64 v7, -v7, v7, s18
	s_waitcnt lgkmcnt(5)
	v_add_f32_e32 v15, v15, v89
	ds_bpermute_b32 v89, v3, v17
	v_cndmask_b32_e64 v17, -v17, v17, s18
	s_waitcnt lgkmcnt(5)
	;; [unrolled: 4-line block ×5, first 2 shown]
	v_add_f32_e32 v7, v7, v91
	ds_bpermute_b32 v91, v3, v9
	v_cndmask_b32_e64 v9, -v9, v9, s18
	v_add_f32_e32 v44, v44, v88
	ds_bpermute_b32 v88, v3, v50
	v_cndmask_b32_e64 v50, -v50, v50, s18
	s_waitcnt lgkmcnt(5)
	v_add_f32_e32 v17, v17, v89
	ds_bpermute_b32 v89, v3, v27
	v_cndmask_b32_e64 v27, -v27, v27, s18
	s_waitcnt lgkmcnt(5)
	v_add_f32_e32 v12, v12, v94
	ds_bpermute_b32 v94, v3, v25
	v_cndmask_b32_e64 v25, -v25, v25, s18
	v_add_f32_e32 v68, v68, v87
	ds_bpermute_b32 v87, v3, v62
	v_cndmask_b32_e64 v62, -v62, v62, s18
	s_waitcnt lgkmcnt(5)
	v_add_f32_e32 v29, v29, v93
	ds_bpermute_b32 v93, v3, v33
	v_cndmask_b32_e64 v33, -v33, v33, s18
	s_waitcnt lgkmcnt(5)
	;; [unrolled: 4-line block ×5, first 2 shown]
	v_add_f32_e32 v25, v25, v94
	ds_bpermute_b32 v94, v3, v35
	v_cndmask_b32_e64 v35, -v35, v35, s18
	v_add_f32_e32 v58, v58, v85
	ds_bpermute_b32 v85, v3, v22
	v_cndmask_b32_e64 v22, -v22, v22, s18
	;; [unrolled: 3-line block ×3, first 2 shown]
	s_waitcnt lgkmcnt(6)
	v_add_f32_e32 v33, v33, v93
	ds_bpermute_b32 v93, v3, v42
	v_cndmask_b32_e64 v42, -v42, v42, s18
	s_waitcnt lgkmcnt(6)
	v_add_f32_e32 v19, v19, v91
	ds_bpermute_b32 v91, v3, v26
	v_cndmask_b32_e64 v26, -v26, v26, s18
	;; [unrolled: 4-line block ×3, first 2 shown]
	v_add_f32_e32 v16, v16, v86
	ds_bpermute_b32 v86, v3, v54
	s_waitcnt lgkmcnt(7)
	v_add_f32_e32 v34, v34, v89
	ds_bpermute_b32 v89, v3, v48
	v_cndmask_b32_e64 v54, -v54, v54, s18
	v_cndmask_b32_e64 v48, -v48, v48, s18
	s_waitcnt lgkmcnt(7)
	v_add_f32_e32 v35, v35, v94
	ds_bpermute_b32 v94, v3, v8
	v_cndmask_b32_e64 v8, -v8, v8, s18
	s_waitcnt lgkmcnt(6)
	v_add_f32_e32 v70, v70, v90
	ds_bpermute_b32 v90, v3, v23
	v_cndmask_b32_e64 v23, -v23, v23, s18
	v_add_f32_e32 v6, v6, v92
	ds_bpermute_b32 v92, v3, v14
	v_cndmask_b32_e64 v14, -v14, v14, s18
	s_waitcnt lgkmcnt(5)
	v_add_f32_e32 v21, v21, v88
	ds_bpermute_b32 v88, v3, v30
	v_cndmask_b32_e64 v30, -v30, v30, s18
	s_waitcnt lgkmcnt(5)
	v_add_f32_e32 v54, v54, v86
	ds_bpermute_b32 v86, v3, v10
	s_waitcnt lgkmcnt(5)
	v_add_f32_e32 v48, v48, v89
	ds_bpermute_b32 v89, v3, v53
	v_cndmask_b32_e64 v53, -v53, v53, s18
	v_cndmask_b32_e64 v10, -v10, v10, s18
	s_waitcnt lgkmcnt(4)
	v_add_f32_e32 v23, v23, v90
	ds_bpermute_b32 v90, v3, v31
	v_cndmask_b32_e64 v31, -v31, v31, s18
	s_waitcnt lgkmcnt(3)
	v_add_f32_e32 v30, v30, v88
	ds_bpermute_b32 v88, v3, v39
	v_cndmask_b32_e64 v39, -v39, v39, s18
	s_waitcnt lgkmcnt(3)
	v_add_f32_e32 v10, v10, v86
	ds_bpermute_b32 v86, v3, v20
	v_cndmask_b32_e64 v20, -v20, v20, s18
	s_waitcnt lgkmcnt(3)
	v_add_f32_e32 v53, v53, v89
	s_waitcnt lgkmcnt(2)
	v_add_f32_e32 v31, v31, v90
	ds_bpermute_b32 v90, v3, v40
	v_cndmask_b32_e64 v40, -v40, v40, s18
	s_waitcnt lgkmcnt(2)
	v_add_f32_e32 v39, v39, v88
	ds_bpermute_b32 v88, v3, v49
	v_cndmask_b32_e64 v49, -v49, v49, s18
	v_add_f32_e32 v22, v22, v85
	ds_bpermute_b32 v85, v3, v32
	v_cndmask_b32_e64 v32, -v32, v32, s18
	s_waitcnt lgkmcnt(1)
	v_add_f32_e32 v49, v49, v88
	ds_bpermute_b32 v88, v3, v51
	v_cndmask_b32_e64 v51, -v51, v51, s18
	s_waitcnt lgkmcnt(1)
	v_add_f32_e32 v32, v32, v85
	ds_bpermute_b32 v85, v3, v45
	v_cndmask_b32_e64 v45, -v45, v45, s18
	v_add_f32_e32 v62, v62, v87
	ds_bpermute_b32 v87, v3, v24
	v_cndmask_b32_e64 v24, -v24, v24, s18
	;; [unrolled: 3-line block ×3, first 2 shown]
	s_waitcnt lgkmcnt(3)
	v_add_f32_e32 v51, v51, v88
	s_waitcnt lgkmcnt(2)
	v_add_f32_e32 v45, v45, v85
	ds_bpermute_b32 v85, v3, v52
	v_cndmask_b32_e64 v52, -v52, v52, s18
	s_waitcnt lgkmcnt(2)
	v_add_f32_e32 v24, v24, v87
	ds_bpermute_b32 v87, v3, v38
	v_cndmask_b32_e64 v38, -v38, v38, s18
	;; [unrolled: 4-line block ×3, first 2 shown]
	v_add_f32_e32 v20, v20, v86
	ds_bpermute_b32 v86, v3, v37
	v_cndmask_b32_e64 v37, -v37, v37, s18
	v_add_f32_e32 v14, v14, v92
	ds_bpermute_b32 v92, v3, v18
	v_cndmask_b32_e64 v18, -v18, v18, s18
	s_waitcnt lgkmcnt(4)
	v_add_f32_e32 v52, v52, v85
	s_waitcnt lgkmcnt(3)
	v_add_f32_e32 v38, v38, v87
	ds_bpermute_b32 v87, v3, v41
	v_cndmask_b32_e64 v41, -v41, v41, s18
	s_waitcnt lgkmcnt(3)
	v_add_f32_e32 v43, v43, v91
	ds_bpermute_b32 v91, v3, v61
	v_cndmask_b32_e64 v61, -v61, v61, s18
	;; [unrolled: 4-line block ×3, first 2 shown]
	s_waitcnt lgkmcnt(2)
	v_add_f32_e32 v41, v41, v87
	v_xor_b32_e32 v87, 8, v4
	s_waitcnt lgkmcnt(1)
	v_add_f32_e32 v61, v61, v91
	s_delay_alu instid0(VALU_DEP_2) | instskip(NEXT) | instid1(VALU_DEP_1)
	v_cmp_gt_i32_e64 s19, 32, v87
	v_cndmask_b32_e64 v85, v4, v87, s19
	ds_bpermute_b32 v87, v3, v57
	v_cndmask_b32_e64 v57, -v57, v57, s18
	v_lshlrev_b32_e32 v85, 2, v85
	ds_bpermute_b32 v88, v85, v5
	v_add_f32_e32 v40, v40, v90
	ds_bpermute_b32 v90, v3, v47
	v_cndmask_b32_e64 v47, -v47, v47, s18
	v_add_f32_e32 v18, v18, v92
	ds_bpermute_b32 v92, v3, v28
	v_cndmask_b32_e64 v28, -v28, v28, s18
	ds_bpermute_b32 v95, v85, v50
	ds_bpermute_b32 v91, v85, v6
	ds_bpermute_b32 v89, v85, v60
	s_waitcnt lgkmcnt(6)
	v_add_f32_e32 v57, v57, v87
	ds_bpermute_b32 v87, v85, v68
	s_waitcnt lgkmcnt(5)
	v_add_f32_e32 v47, v47, v90
	ds_bpermute_b32 v90, v3, v56
	v_cndmask_b32_e64 v56, -v56, v56, s18
	s_waitcnt lgkmcnt(5)
	v_add_f32_e32 v28, v28, v92
	ds_bpermute_b32 v92, v3, v46
	v_cndmask_b32_e64 v46, -v46, v46, s18
	s_waitcnt lgkmcnt(0)
	s_delay_alu instid0(VALU_DEP_1) | instskip(SKIP_1) | instid1(VALU_DEP_1)
	v_add_f32_e32 v46, v46, v92
	v_and_b32_e32 v92, 8, v0
	v_cmp_eq_u32_e64 s19, 0, v92
	ds_bpermute_b32 v92, v85, v63
	v_cndmask_b32_e64 v50, -v50, v50, s19
	v_cndmask_b32_e64 v63, -v63, v63, s19
	v_add_f32_e32 v84, v84, v86
	ds_bpermute_b32 v86, v3, v44
	v_cndmask_b32_e64 v44, -v44, v44, s18
	v_add_f32_e32 v50, v50, v95
	ds_bpermute_b32 v95, v85, v66
	v_cndmask_b32_e64 v66, -v66, v66, s19
	v_cndmask_b32_e64 v5, -v5, v5, s19
	;; [unrolled: 1-line block ×4, first 2 shown]
	s_delay_alu instid0(VALU_DEP_2)
	v_dual_add_f32 v5, v5, v88 :: v_dual_add_f32 v88, v6, v91
	v_cndmask_b32_e64 v6, -v54, v54, s19
	s_waitcnt lgkmcnt(2)
	v_add_f32_e32 v63, v63, v92
	ds_bpermute_b32 v92, v85, v58
	v_add_f32_e32 v60, v60, v89
	ds_bpermute_b32 v89, v85, v70
	;; [unrolled: 2-line block ×3, first 2 shown]
	v_cndmask_b32_e64 v59, -v59, v59, s19
	ds_bpermute_b32 v91, v85, v14
	v_cndmask_b32_e64 v14, -v14, v14, s19
	s_waitcnt lgkmcnt(4)
	v_add_f32_e32 v66, v66, v95
	ds_bpermute_b32 v95, v85, v21
	v_add_f32_e32 v42, v42, v93
	ds_bpermute_b32 v93, v85, v55
	v_cndmask_b32_e64 v55, -v55, v55, s19
	s_waitcnt lgkmcnt(3)
	v_add_f32_e32 v59, v59, v94
	ds_bpermute_b32 v94, v85, v13
	v_cndmask_b32_e64 v13, -v13, v13, s19
	s_waitcnt lgkmcnt(3)
	v_add_f32_e32 v91, v14, v91
	ds_bpermute_b32 v14, v85, v23
	s_waitcnt lgkmcnt(2)
	v_add_f32_e32 v55, v55, v93
	ds_bpermute_b32 v93, v85, v64
	v_cndmask_b32_e64 v64, -v64, v64, s19
	s_waitcnt lgkmcnt(0)
	s_delay_alu instid0(VALU_DEP_1)
	v_add_f32_e32 v64, v64, v93
	ds_bpermute_b32 v93, v85, v11
	v_add_f32_e32 v44, v44, v86
	ds_bpermute_b32 v86, v3, v16
	v_cndmask_b32_e64 v16, -v16, v16, s18
	s_waitcnt lgkmcnt(0)
	s_delay_alu instid0(VALU_DEP_1)
	v_add_f32_e32 v16, v16, v86
	ds_bpermute_b32 v86, v85, v54
	v_cndmask_b32_e64 v54, -v68, v68, s19
	ds_bpermute_b32 v68, v85, v15
	v_dual_add_f32 v54, v54, v87 :: v_dual_add_f32 v87, v13, v94
	v_cndmask_b32_e64 v13, -v70, v70, s19
	ds_bpermute_b32 v70, v85, v62
	ds_bpermute_b32 v94, v85, v12
	v_add_f32_e32 v89, v13, v89
	ds_bpermute_b32 v13, v85, v17
	s_waitcnt lgkmcnt(4)
	v_add_f32_e32 v86, v6, v86
	v_cndmask_b32_e64 v6, -v15, v15, s19
	v_cndmask_b32_e64 v15, -v58, v58, s19
	ds_bpermute_b32 v58, v85, v10
	s_waitcnt lgkmcnt(4)
	v_add_f32_e32 v68, v6, v68
	v_add_f32_e32 v92, v15, v92
	ds_bpermute_b32 v15, v85, v19
	v_cndmask_b32_e64 v6, -v10, v10, s19
	v_cndmask_b32_e64 v10, -v11, v11, s19
	;; [unrolled: 1-line block ×4, first 2 shown]
	ds_bpermute_b32 v21, v85, v18
	v_add_f32_e32 v93, v10, v93
	v_cndmask_b32_e64 v10, -v19, v19, s19
	ds_bpermute_b32 v19, v85, v29
	s_waitcnt lgkmcnt(5)
	v_dual_add_f32 v94, v11, v94 :: v_dual_add_f32 v95, v12, v95
	v_cndmask_b32_e64 v11, -v18, v18, s19
	v_cndmask_b32_e64 v12, -v22, v22, s19
	ds_bpermute_b32 v18, v85, v24
	s_waitcnt lgkmcnt(4)
	v_add_f32_e32 v58, v6, v58
	v_cndmask_b32_e64 v6, -v17, v17, s19
	ds_bpermute_b32 v17, v85, v20
	s_waitcnt lgkmcnt(4)
	v_add_f32_e32 v98, v10, v15
	v_cndmask_b32_e64 v10, -v29, v29, s19
	v_add_f32_e32 v56, v56, v90
	ds_bpermute_b32 v90, v85, v7
	v_cndmask_b32_e64 v7, -v7, v7, s19
	ds_bpermute_b32 v15, v85, v26
	s_waitcnt lgkmcnt(5)
	v_add_f32_e32 v99, v11, v21
	ds_bpermute_b32 v21, v85, v32
	v_cndmask_b32_e64 v11, -v25, v25, s19
	s_waitcnt lgkmcnt(5)
	v_add_f32_e32 v101, v10, v19
	ds_bpermute_b32 v19, v85, v33
	v_cndmask_b32_e64 v10, -v26, v26, s19
	;; [unrolled: 4-line block ×3, first 2 shown]
	s_waitcnt lgkmcnt(3)
	v_add_f32_e32 v105, v10, v15
	v_cndmask_b32_e64 v10, -v33, v33, s19
	ds_bpermute_b32 v15, v85, v36
	s_waitcnt lgkmcnt(2)
	v_add_f32_e32 v108, v10, v19
	ds_bpermute_b32 v19, v85, v49
	v_cndmask_b32_e64 v10, -v36, v36, s19
	s_waitcnt lgkmcnt(2)
	v_add_f32_e32 v90, v9, v90
	v_cndmask_b32_e64 v9, -v62, v62, s19
	ds_bpermute_b32 v62, v85, v22
	ds_bpermute_b32 v22, v85, v25
	v_add_f32_e32 v70, v9, v70
	v_cndmask_b32_e64 v9, -v23, v23, s19
	ds_bpermute_b32 v23, v85, v30
	v_add_f32_e32 v97, v9, v14
	ds_bpermute_b32 v14, v85, v31
	v_cndmask_b32_e64 v9, -v24, v24, s19
	s_delay_alu instid0(VALU_DEP_1)
	v_add_f32_e32 v100, v9, v18
	ds_bpermute_b32 v18, v85, v38
	v_cndmask_b32_e64 v9, -v31, v31, s19
	s_waitcnt lgkmcnt(4)
	v_add_f32_e32 v62, v12, v62
	v_cndmask_b32_e64 v12, -v30, v30, s19
	s_waitcnt lgkmcnt(2)
	s_delay_alu instid0(VALU_DEP_1) | instskip(SKIP_2) | instid1(VALU_DEP_1)
	v_add_f32_e32 v103, v12, v23
	ds_bpermute_b32 v23, v85, v39
	v_cndmask_b32_e64 v12, -v32, v32, s19
	v_add_f32_e32 v107, v12, v21
	v_cndmask_b32_e64 v12, -v39, v39, s19
	ds_bpermute_b32 v21, v85, v84
	s_waitcnt lgkmcnt(1)
	v_add_f32_e32 v110, v12, v23
	v_cndmask_b32_e64 v23, -v84, v84, s19
	v_add_f32_e32 v84, v10, v15
	v_cndmask_b32_e64 v15, -v49, v49, s19
	v_cndmask_b32_e64 v10, -v46, v46, s19
	ds_bpermute_b32 v12, v85, v41
	v_add_f32_e32 v116, v15, v19
	ds_bpermute_b32 v15, v85, v51
	v_add_f32_e32 v96, v6, v13
	ds_bpermute_b32 v13, v85, v27
	v_cndmask_b32_e64 v6, -v20, v20, s19
	ds_bpermute_b32 v20, v85, v28
	v_dual_add_f32 v30, v6, v17 :: v_dual_and_b32 v19, 16, v0
	v_cndmask_b32_e64 v6, -v27, v27, s19
	ds_bpermute_b32 v17, v85, v37
	s_waitcnt lgkmcnt(2)
	v_add_f32_e32 v32, v6, v13
	ds_bpermute_b32 v13, v85, v34
	v_cndmask_b32_e64 v6, -v37, v37, s19
	s_waitcnt lgkmcnt(1)
	s_delay_alu instid0(VALU_DEP_1)
	v_add_f32_e32 v33, v6, v17
	v_cndmask_b32_e64 v6, -v34, v34, s19
	ds_bpermute_b32 v17, v85, v46
	s_waitcnt lgkmcnt(1)
	v_add_f32_e32 v34, v6, v13
	ds_bpermute_b32 v13, v85, v8
	v_cndmask_b32_e64 v8, -v8, v8, s19
	v_cndmask_b32_e64 v6, -v41, v41, s19
	s_delay_alu instid0(VALU_DEP_1)
	v_add_f32_e32 v113, v6, v12
	s_waitcnt lgkmcnt(1)
	v_add_f32_e32 v114, v10, v17
	v_xor_b32_e32 v10, 16, v4
	ds_bpermute_b32 v17, v85, v53
	v_cndmask_b32_e64 v6, -v47, v47, s19
	v_cndmask_b32_e64 v12, -v43, v43, s19
	v_cmp_gt_i32_e64 s20, 32, v10
	s_delay_alu instid0(VALU_DEP_1)
	v_cndmask_b32_e64 v4, v4, v10, s20
	s_waitcnt lgkmcnt(1)
	v_add_f32_e32 v120, v8, v13
	ds_bpermute_b32 v13, v85, v57
	v_cndmask_b32_e64 v10, -v53, v53, s19
	v_cndmask_b32_e64 v8, -v44, v44, s19
	v_lshlrev_b32_e32 v121, 2, v4
	ds_bpermute_b32 v4, v85, v56
	ds_bpermute_b32 v25, v121, v91
	s_waitcnt lgkmcnt(3)
	v_add_f32_e32 v124, v10, v17
	v_cndmask_b32_e64 v10, -v57, v57, s19
	ds_bpermute_b32 v17, v121, v5
	v_add_f32_e32 v102, v11, v22
	v_cndmask_b32_e64 v11, -v28, v28, s19
	ds_bpermute_b32 v22, v85, v35
	ds_bpermute_b32 v28, v121, v70
	ds_bpermute_b32 v24, v121, v90
	ds_bpermute_b32 v27, v121, v58
	v_add_f32_e32 v106, v11, v20
	ds_bpermute_b32 v20, v85, v45
	s_waitcnt lgkmcnt(8)
	v_add_f32_e32 v128, v10, v13
	ds_bpermute_b32 v13, v121, v63
	v_add_f32_e32 v104, v9, v14
	ds_bpermute_b32 v14, v85, v40
	v_cndmask_b32_e64 v9, -v38, v38, s19
	v_cndmask_b32_e64 v11, -v35, v35, s19
	ds_bpermute_b32 v41, v121, v99
	ds_bpermute_b32 v37, v121, v95
	;; [unrolled: 1-line block ×3, first 2 shown]
	v_add_f32_e32 v35, v9, v18
	ds_bpermute_b32 v18, v85, v42
	v_cndmask_b32_e64 v9, -v40, v40, s19
	ds_bpermute_b32 v39, v121, v97
	s_waitcnt lgkmcnt(11)
	v_add_f32_e32 v109, v11, v22
	v_cndmask_b32_e64 v11, -v45, v45, s19
	ds_bpermute_b32 v22, v85, v48
	ds_bpermute_b32 v45, v121, v101
	;; [unrolled: 1-line block ×3, first 2 shown]
	s_waitcnt lgkmcnt(10)
	v_add_f32_e32 v111, v11, v20
	ds_bpermute_b32 v11, v85, v43
	ds_bpermute_b32 v20, v85, v52
	s_waitcnt lgkmcnt(10)
	v_add_f32_e32 v36, v9, v14
	ds_bpermute_b32 v9, v85, v47
	v_cndmask_b32_e64 v14, -v42, v42, s19
	ds_bpermute_b32 v47, v121, v103
	s_waitcnt lgkmcnt(8)
	v_add_f32_e32 v115, v14, v18
	ds_bpermute_b32 v14, v85, v44
	ds_bpermute_b32 v18, v121, v55
	;; [unrolled: 1-line block ×3, first 2 shown]
	s_waitcnt lgkmcnt(6)
	v_add_f32_e32 v119, v12, v11
	ds_bpermute_b32 v11, v85, v61
	ds_bpermute_b32 v12, v85, v16
	s_waitcnt lgkmcnt(6)
	v_add_f32_e32 v118, v6, v9
	v_cndmask_b32_e64 v6, -v52, v52, s19
	v_cndmask_b32_e64 v9, -v51, v51, s19
	ds_bpermute_b32 v52, v121, v33
	ds_bpermute_b32 v51, v121, v107
	v_add_f32_e32 v85, v6, v20
	ds_bpermute_b32 v20, v121, v7
	s_waitcnt lgkmcnt(7)
	v_dual_add_f32 v122, v8, v14 :: v_dual_add_f32 v123, v9, v15
	v_cndmask_b32_e64 v6, -v56, v56, s19
	v_cndmask_b32_e64 v8, -v61, v61, s19
	;; [unrolled: 1-line block ×3, first 2 shown]
	ds_bpermute_b32 v15, v121, v59
	ds_bpermute_b32 v16, v121, v50
	ds_bpermute_b32 v31, v121, v94
	v_add_f32_e32 v112, v23, v21
	v_cndmask_b32_e64 v21, -v48, v48, s19
	v_cmp_eq_u32_e64 s19, 0, v19
	ds_bpermute_b32 v19, v121, v60
	s_waitcnt lgkmcnt(8)
	v_dual_add_f32 v125, v6, v4 :: v_dual_add_f32 v126, v8, v11
	s_waitcnt lgkmcnt(7)
	v_add_f32_e32 v127, v9, v12
	v_cndmask_b32_e64 v14, -v55, v55, s19
	v_cndmask_b32_e64 v9, -v5, v5, s19
	;; [unrolled: 1-line block ×3, first 2 shown]
	v_add_f32_e32 v117, v21, v22
	v_cndmask_b32_e64 v6, -v59, v59, s19
	v_add_f32_e32 v4, v14, v18
	ds_bpermute_b32 v18, v121, v54
	v_cndmask_b32_e64 v8, -v50, v50, s19
	v_cndmask_b32_e64 v10, -v60, v60, s19
	ds_bpermute_b32 v12, v121, v88
	ds_bpermute_b32 v14, v121, v86
	;; [unrolled: 1-line block ×3, first 2 shown]
	v_add_f32_e32 v7, v9, v17
	s_waitcnt lgkmcnt(8)
	v_add_f32_e32 v9, v11, v20
	ds_bpermute_b32 v20, v121, v66
	s_waitcnt lgkmcnt(7)
	v_dual_add_f32 v5, v6, v15 :: v_dual_add_f32 v6, v8, v16
	s_waitcnt lgkmcnt(5)
	v_add_f32_e32 v8, v10, v19
	ds_bpermute_b32 v19, v121, v87
	ds_bpermute_b32 v22, v121, v68
	;; [unrolled: 1-line block ×3, first 2 shown]
	v_cndmask_b32_e64 v11, -v63, v63, s19
	v_cndmask_b32_e64 v16, -v54, v54, s19
	v_cndmask_b32_e64 v10, -v88, v88, s19
	v_cndmask_b32_e64 v15, -v86, v86, s19
	v_cndmask_b32_e64 v17, -v64, v64, s19
	v_add_f32_e32 v11, v11, v13
	s_waitcnt lgkmcnt(7)
	v_add_f32_e32 v13, v16, v18
	v_cndmask_b32_e64 v16, -v66, v66, s19
	ds_bpermute_b32 v38, v121, v96
	s_waitcnt lgkmcnt(7)
	v_add_f32_e32 v10, v10, v12
	s_waitcnt lgkmcnt(6)
	v_add_f32_e32 v12, v15, v14
	v_cndmask_b32_e64 v15, -v87, v87, s19
	v_cndmask_b32_e64 v18, -v89, v89, s19
	ds_bpermute_b32 v60, v121, v113
	s_waitcnt lgkmcnt(6)
	v_add_f32_e32 v14, v17, v21
	v_cndmask_b32_e64 v17, -v68, v68, s19
	ds_bpermute_b32 v63, v121, v117
	s_waitcnt lgkmcnt(6)
	v_add_f32_e32 v16, v16, v20
	v_cndmask_b32_e64 v20, -v91, v91, s19
	v_cndmask_b32_e64 v21, -v90, v90, s19
	s_waitcnt lgkmcnt(5)
	v_add_f32_e32 v15, v15, v19
	s_waitcnt lgkmcnt(3)
	v_dual_add_f32 v17, v17, v22 :: v_dual_add_f32 v18, v18, v23
	v_cndmask_b32_e64 v22, -v58, v58, s19
	v_cndmask_b32_e64 v23, -v70, v70, s19
	ds_bpermute_b32 v42, v121, v62
	ds_bpermute_b32 v43, v121, v30
	;; [unrolled: 1-line block ×5, first 2 shown]
	v_cndmask_b32_e64 v70, -v119, v119, s19
	v_add_f32_e32 v20, v20, v25
	v_cndmask_b32_e64 v25, -v94, v94, s19
	v_add_f32_e32 v19, v21, v24
	v_cndmask_b32_e64 v21, -v92, v92, s19
	v_dual_add_f32 v22, v22, v27 :: v_dual_add_f32 v23, v23, v28
	v_cndmask_b32_e64 v27, -v96, v96, s19
	v_add_f32_e32 v25, v25, v31
	v_cndmask_b32_e64 v31, -v99, v99, s19
	ds_bpermute_b32 v49, v121, v104
	ds_bpermute_b32 v57, v121, v36
	;; [unrolled: 1-line block ×3, first 2 shown]
	v_add_f32_e32 v21, v21, v26
	v_cndmask_b32_e64 v26, -v95, v95, s19
	s_waitcnt lgkmcnt(10)
	v_add_f32_e32 v27, v27, v38
	v_cndmask_b32_e64 v38, -v30, v30, s19
	v_add_f32_e32 v30, v31, v41
	v_cndmask_b32_e64 v41, -v103, v103, s19
	v_cndmask_b32_e64 v33, -v33, v33, s19
	ds_bpermute_b32 v44, v121, v100
	v_cndmask_b32_e64 v32, -v32, v32, s19
	v_cndmask_b32_e64 v35, -v35, v35, s19
	v_add_f32_e32 v41, v41, v47
	v_add_f32_e32 v47, v33, v52
	v_cndmask_b32_e64 v34, -v34, v34, s19
	ds_bpermute_b32 v87, v121, v124
	v_add_f32_e32 v26, v26, v37
	v_cndmask_b32_e64 v37, -v62, v62, s19
	v_cndmask_b32_e64 v24, -v93, v93, s19
	ds_bpermute_b32 v50, v121, v105
	s_waitcnt lgkmcnt(7)
	v_add_f32_e32 v52, v34, v56
	v_cndmask_b32_e64 v34, -v113, v113, s19
	v_add_f32_e32 v31, v37, v42
	v_add_f32_e32 v37, v38, v43
	v_cndmask_b32_e64 v43, -v104, v104, s19
	v_add_f32_e32 v42, v32, v48
	v_add_f32_e32 v48, v35, v53
	v_cndmask_b32_e64 v35, -v36, v36, s19
	v_cndmask_b32_e64 v28, -v97, v97, s19
	s_waitcnt lgkmcnt(5)
	v_add_f32_e32 v43, v43, v49
	ds_bpermute_b32 v46, v121, v102
	ds_bpermute_b32 v55, v121, v110
	s_waitcnt lgkmcnt(6)
	v_add_f32_e32 v53, v35, v57
	v_add_f32_e32 v57, v34, v60
	ds_bpermute_b32 v34, v121, v122
	v_add_f32_e32 v24, v24, v29
	v_cndmask_b32_e64 v29, -v98, v98, s19
	v_add_f32_e32 v28, v28, v39
	v_cndmask_b32_e64 v39, -v100, v100, s19
	ds_bpermute_b32 v54, v121, v108
	ds_bpermute_b32 v36, v121, v111
	s_waitcnt lgkmcnt(8)
	v_add_f32_e32 v29, v29, v40
	v_cndmask_b32_e64 v40, -v101, v101, s19
	s_waitcnt lgkmcnt(7)
	v_add_f32_e32 v38, v39, v44
	v_cndmask_b32_e64 v44, -v105, v105, s19
	ds_bpermute_b32 v59, v121, v112
	v_cndmask_b32_e64 v32, -v106, v106, s19
	v_add_f32_e32 v39, v40, v45
	ds_bpermute_b32 v45, v121, v106
	s_waitcnt lgkmcnt(7)
	v_add_f32_e32 v44, v44, v50
	ds_bpermute_b32 v50, v121, v109
	v_cndmask_b32_e64 v40, -v102, v102, s19
	ds_bpermute_b32 v58, v121, v84
	v_cndmask_b32_e64 v33, -v110, v110, s19
	ds_bpermute_b32 v61, v121, v114
	ds_bpermute_b32 v62, v121, v115
	s_waitcnt lgkmcnt(10)
	v_add_f32_e32 v40, v40, v46
	v_cndmask_b32_e64 v46, -v107, v107, s19
	ds_bpermute_b32 v35, v121, v116
	v_cndmask_b32_e64 v49, -v108, v108, s19
	ds_bpermute_b32 v64, v121, v118
	v_cndmask_b32_e64 v68, -v115, v115, s19
	v_add_f32_e32 v46, v46, v51
	s_waitcnt lgkmcnt(11)
	v_add_f32_e32 v51, v33, v55
	v_cndmask_b32_e64 v33, -v112, v112, s19
	s_waitcnt lgkmcnt(9)
	v_add_f32_e32 v49, v49, v54
	v_cndmask_b32_e64 v54, -v84, v84, s19
	v_cndmask_b32_e64 v86, -v123, v123, s19
	s_waitcnt lgkmcnt(6)
	v_add_f32_e32 v45, v32, v45
	v_cndmask_b32_e64 v32, -v109, v109, s19
	v_add_f32_e32 v56, v33, v59
	ds_bpermute_b32 v33, v121, v85
	s_waitcnt lgkmcnt(5)
	v_add_f32_e32 v54, v54, v58
	v_cndmask_b32_e64 v58, -v114, v114, s19
	v_add_f32_e32 v50, v32, v50
	v_cndmask_b32_e64 v32, -v111, v111, s19
	s_waitcnt lgkmcnt(3)
	v_add_f32_e32 v59, v68, v62
	v_cndmask_b32_e64 v62, -v118, v118, s19
	v_add_f32_e32 v58, v58, v61
	v_cndmask_b32_e64 v61, -v117, v117, s19
	v_add_f32_e32 v55, v32, v36
	ds_bpermute_b32 v32, v121, v120
	v_cndmask_b32_e64 v36, -v116, v116, s19
	ds_bpermute_b32 v68, v121, v123
	s_waitcnt lgkmcnt(3)
	v_dual_add_f32 v61, v61, v63 :: v_dual_add_f32 v62, v62, v64
	v_dual_add_f32 v63, v70, v66 :: v_dual_add_f32 v60, v36, v35
	ds_bpermute_b32 v36, v121, v126
	v_cndmask_b32_e64 v64, -v120, v120, s19
	v_cndmask_b32_e64 v66, -v85, v85, s19
	;; [unrolled: 1-line block ×3, first 2 shown]
	ds_bpermute_b32 v35, v121, v125
	ds_bpermute_b32 v90, v121, v127
	s_waitcnt lgkmcnt(5)
	v_add_f32_e32 v84, v66, v33
	v_add_f32_e32 v85, v70, v34
	v_and_b32_e32 v33, 7, v0
	v_lshrrev_b32_e32 v34, 3, v0
	v_cndmask_b32_e64 v66, -v125, v125, s19
	s_waitcnt lgkmcnt(4)
	v_add_f32_e32 v64, v64, v32
	v_cndmask_b32_e64 v32, -v124, v124, s19
	v_lshl_or_b32 v34, v33, 5, v34
	s_waitcnt lgkmcnt(3)
	v_add_f32_e32 v86, v86, v68
	v_lshrrev_b32_e32 v68, 5, v0
	v_add_f32_e32 v87, v32, v87
	v_cndmask_b32_e64 v32, -v126, v126, s19
	s_delay_alu instid0(VALU_DEP_3) | instskip(SKIP_1) | instid1(VALU_DEP_2)
	v_xor_b32_e32 v0, v68, v0
	s_waitcnt lgkmcnt(1)
	v_dual_add_f32 v88, v66, v35 :: v_dual_add_f32 v89, v32, v36
	v_xor_b32_e32 v32, v34, v33
	ds_bpermute_b32 v33, v121, v128
	v_cndmask_b32_e64 v34, -v128, v128, s19
	v_lshl_add_u32 v36, v0, 4, 0
	v_cndmask_b32_e64 v35, -v127, v127, s19
	v_lshl_add_u32 v32, v32, 4, 0
	s_waitcnt lgkmcnt(0)
	s_delay_alu instid0(VALU_DEP_2)
	v_dual_add_f32 v90, v35, v90 :: v_dual_add_f32 v91, v34, v33
	ds_store_b128 v36, v[4:7]
	ds_store_b128 v36, v[8:11] offset:4096
	ds_store_b128 v36, v[12:15] offset:8192
	;; [unrolled: 1-line block ×7, first 2 shown]
	s_waitcnt lgkmcnt(0)
	s_barrier
	buffer_gl0_inv
	ds_load_b128 v[4:7], v32
	ds_load_b128 v[8:11], v32 offset:4096
	ds_load_b128 v[12:15], v32 offset:8192
	;; [unrolled: 1-line block ×7, first 2 shown]
	s_waitcnt lgkmcnt(0)
	s_barrier
	buffer_gl0_inv
	ds_bpermute_b32 v66, v1, v8
	ds_bpermute_b32 v68, v1, v9
	;; [unrolled: 1-line block ×7, first 2 shown]
	v_cndmask_b32_e64 v4, -v4, v4, s0
	v_cndmask_b32_e64 v5, -v5, v5, s0
	ds_bpermute_b32 v34, v1, v6
	ds_bpermute_b32 v35, v1, v7
	;; [unrolled: 1-line block ×3, first 2 shown]
	v_cndmask_b32_e64 v13, -v13, v13, s0
	v_cndmask_b32_e64 v14, -v14, v14, s0
	;; [unrolled: 1-line block ×3, first 2 shown]
	s_waitcnt lgkmcnt(4)
	v_add_f32_e32 v0, v4, v0
	s_waitcnt lgkmcnt(3)
	v_add_f32_e32 v4, v5, v33
	v_cndmask_b32_e64 v5, -v6, v6, s0
	v_cndmask_b32_e64 v6, -v7, v7, s0
	;; [unrolled: 1-line block ×5, first 2 shown]
	ds_bpermute_b32 v10, v1, v11
	ds_bpermute_b32 v33, v1, v12
	s_waitcnt lgkmcnt(3)
	v_dual_add_f32 v5, v5, v34 :: v_dual_add_f32 v6, v6, v35
	v_cndmask_b32_e64 v11, -v11, v11, s0
	v_cndmask_b32_e64 v12, -v12, v12, s0
	ds_bpermute_b32 v34, v1, v16
	ds_bpermute_b32 v35, v1, v17
	v_dual_add_f32 v7, v7, v66 :: v_dual_add_f32 v8, v8, v68
	v_add_f32_e32 v9, v9, v70
	ds_bpermute_b32 v66, v1, v18
	ds_bpermute_b32 v68, v1, v19
	;; [unrolled: 1-line block ×3, first 2 shown]
	s_waitcnt lgkmcnt(5)
	v_dual_add_f32 v10, v11, v10 :: v_dual_add_f32 v11, v12, v33
	v_dual_add_f32 v12, v13, v92 :: v_dual_add_f32 v13, v14, v93
	v_add_f32_e32 v14, v15, v94
	v_cndmask_b32_e64 v15, -v16, v16, s0
	v_cndmask_b32_e64 v16, -v17, v17, s0
	;; [unrolled: 1-line block ×5, first 2 shown]
	ds_bpermute_b32 v20, v1, v21
	ds_bpermute_b32 v33, v1, v22
	;; [unrolled: 1-line block ×5, first 2 shown]
	s_waitcnt lgkmcnt(8)
	v_dual_add_f32 v15, v15, v34 :: v_dual_add_f32 v16, v16, v35
	v_cndmask_b32_e64 v21, -v21, v21, s0
	v_cndmask_b32_e64 v22, -v22, v22, s0
	;; [unrolled: 1-line block ×5, first 2 shown]
	ds_bpermute_b32 v34, v1, v26
	ds_bpermute_b32 v35, v1, v27
	s_waitcnt lgkmcnt(8)
	v_dual_add_f32 v17, v17, v66 :: v_dual_add_f32 v18, v18, v68
	s_waitcnt lgkmcnt(7)
	v_add_f32_e32 v19, v19, v70
	ds_bpermute_b32 v66, v1, v28
	ds_bpermute_b32 v68, v1, v29
	;; [unrolled: 1-line block ×3, first 2 shown]
	s_waitcnt lgkmcnt(8)
	v_dual_add_f32 v20, v21, v20 :: v_dual_add_f32 v21, v22, v33
	s_waitcnt lgkmcnt(6)
	v_dual_add_f32 v22, v23, v92 :: v_dual_add_f32 v23, v24, v93
	s_waitcnt lgkmcnt(5)
	v_add_f32_e32 v24, v25, v94
	v_cndmask_b32_e64 v25, -v26, v26, s0
	v_cndmask_b32_e64 v26, -v27, v27, s0
	;; [unrolled: 1-line block ×5, first 2 shown]
	ds_bpermute_b32 v30, v1, v31
	ds_bpermute_b32 v33, v1, v37
	;; [unrolled: 1-line block ×4, first 2 shown]
	s_waitcnt lgkmcnt(7)
	v_dual_add_f32 v25, v25, v34 :: v_dual_add_f32 v26, v26, v35
	v_cndmask_b32_e64 v31, -v31, v31, s0
	v_cndmask_b32_e64 v34, -v37, v37, s0
	;; [unrolled: 1-line block ×4, first 2 shown]
	s_waitcnt lgkmcnt(6)
	v_add_f32_e32 v27, v27, v66
	s_waitcnt lgkmcnt(4)
	v_add_f32_e32 v29, v29, v70
	ds_bpermute_b32 v93, v1, v39
	v_add_f32_e32 v28, v28, v68
	v_cndmask_b32_e64 v37, -v39, v39, s0
	s_waitcnt lgkmcnt(3)
	v_dual_add_f32 v30, v31, v30 :: v_dual_add_f32 v31, v34, v33
	s_waitcnt lgkmcnt(2)
	v_add_f32_e32 v33, v35, v92
	s_waitcnt lgkmcnt(1)
	v_add_f32_e32 v35, v38, v94
	ds_store_b128 v36, v[41:44]
	ds_store_b128 v36, v[45:48] offset:4096
	ds_store_b128 v36, v[49:52] offset:8192
	;; [unrolled: 1-line block ×7, first 2 shown]
	s_waitcnt lgkmcnt(0)
	s_barrier
	buffer_gl0_inv
	ds_load_b128 v[41:44], v32
	ds_load_b128 v[45:48], v32 offset:4096
	ds_load_b128 v[49:52], v32 offset:8192
	;; [unrolled: 1-line block ×7, first 2 shown]
	s_waitcnt lgkmcnt(0)
	s_barrier
	v_add_f32_e32 v34, v37, v93
	buffer_gl0_inv
	ds_bpermute_b32 v39, v1, v41
	ds_bpermute_b32 v40, v1, v42
	;; [unrolled: 1-line block ×5, first 2 shown]
	v_cndmask_b32_e64 v37, -v41, v41, s0
	v_cndmask_b32_e64 v38, -v42, v42, s0
	v_cndmask_b32_e64 v41, -v43, v43, s0
	v_cndmask_b32_e64 v42, -v44, v44, s0
	v_cndmask_b32_e64 v43, -v45, v45, s0
	ds_bpermute_b32 v44, v1, v46
	ds_bpermute_b32 v45, v1, v47
	ds_bpermute_b32 v92, v1, v48
	ds_bpermute_b32 v93, v1, v49
	ds_bpermute_b32 v94, v1, v50
	s_waitcnt lgkmcnt(8)
	v_dual_add_f32 v37, v37, v39 :: v_dual_add_f32 v38, v38, v40
	s_waitcnt lgkmcnt(6)
	v_dual_add_f32 v39, v41, v66 :: v_dual_add_f32 v40, v42, v68
	s_waitcnt lgkmcnt(5)
	v_add_f32_e32 v41, v43, v70
	v_cndmask_b32_e64 v42, -v46, v46, s0
	v_cndmask_b32_e64 v43, -v47, v47, s0
	v_cndmask_b32_e64 v46, -v48, v48, s0
	v_cndmask_b32_e64 v47, -v49, v49, s0
	v_cndmask_b32_e64 v48, -v50, v50, s0
	ds_bpermute_b32 v49, v1, v51
	ds_bpermute_b32 v50, v1, v52
	ds_bpermute_b32 v66, v1, v53
	ds_bpermute_b32 v68, v1, v54
	ds_bpermute_b32 v70, v1, v55
	s_waitcnt lgkmcnt(8)
	v_dual_add_f32 v42, v42, v44 :: v_dual_add_f32 v43, v43, v45
	s_waitcnt lgkmcnt(6)
	v_dual_add_f32 v44, v46, v92 :: v_dual_add_f32 v45, v47, v93
	s_waitcnt lgkmcnt(5)
	v_add_f32_e32 v46, v48, v94
	;; [unrolled: 16-line block ×4, first 2 shown]
	v_cndmask_b32_e64 v58, -v62, v62, s0
	v_cndmask_b32_e64 v62, -v64, v64, s0
	ds_bpermute_b32 v64, v1, v85
	ds_bpermute_b32 v92, v1, v87
	;; [unrolled: 1-line block ×4, first 2 shown]
	v_cndmask_b32_e64 v57, -v61, v61, s0
	v_cndmask_b32_e64 v61, -v63, v63, s0
	;; [unrolled: 1-line block ×3, first 2 shown]
	ds_bpermute_b32 v84, v1, v86
	s_waitcnt lgkmcnt(8)
	v_dual_add_f32 v57, v57, v59 :: v_dual_add_f32 v58, v58, v60
	s_waitcnt lgkmcnt(6)
	v_dual_add_f32 v59, v61, v66 :: v_dual_add_f32 v60, v62, v68
	s_waitcnt lgkmcnt(5)
	v_add_f32_e32 v61, v63, v70
	v_cndmask_b32_e64 v62, -v85, v85, s0
	v_cndmask_b32_e64 v63, -v86, v86, s0
	v_cndmask_b32_e64 v66, -v87, v87, s0
	v_cndmask_b32_e64 v68, -v88, v88, s0
	v_cndmask_b32_e64 v70, -v89, v89, s0
	ds_bpermute_b32 v85, v1, v90
	ds_bpermute_b32 v1, v1, v91
	ds_bpermute_b32 v86, v2, v0
	ds_bpermute_b32 v87, v2, v4
	ds_bpermute_b32 v88, v2, v5
	s_waitcnt lgkmcnt(9)
	v_add_f32_e32 v62, v62, v64
	s_waitcnt lgkmcnt(8)
	v_add_f32_e32 v64, v66, v92
	;; [unrolled: 2-line block ×4, first 2 shown]
	v_cndmask_b32_e64 v70, -v90, v90, s0
	ds_bpermute_b32 v89, v2, v6
	ds_bpermute_b32 v90, v2, v7
	s_waitcnt lgkmcnt(7)
	v_add_f32_e32 v63, v63, v84
	v_cndmask_b32_e64 v84, -v91, v91, s0
	v_cndmask_b32_e64 v0, -v0, v0, s1
	v_cndmask_b32_e64 v4, -v4, v4, s1
	v_cndmask_b32_e64 v5, -v5, v5, s1
	ds_bpermute_b32 v91, v2, v8
	ds_bpermute_b32 v92, v2, v9
	v_cndmask_b32_e64 v6, -v6, v6, s1
	v_cndmask_b32_e64 v7, -v7, v7, s1
	s_waitcnt lgkmcnt(7)
	v_add_f32_e32 v1, v84, v1
	s_waitcnt lgkmcnt(6)
	v_add_f32_e32 v0, v0, v86
	ds_bpermute_b32 v84, v2, v11
	ds_bpermute_b32 v86, v2, v13
	v_add_f32_e32 v70, v70, v85
	s_waitcnt lgkmcnt(6)
	v_dual_add_f32 v4, v4, v87 :: v_dual_add_f32 v5, v5, v88
	ds_bpermute_b32 v85, v2, v12
	ds_bpermute_b32 v87, v2, v14
	;; [unrolled: 1-line block ×3, first 2 shown]
	s_waitcnt lgkmcnt(7)
	v_dual_add_f32 v6, v6, v89 :: v_dual_add_f32 v89, v7, v90
	v_cndmask_b32_e64 v7, -v11, v11, s1
	v_cndmask_b32_e64 v11, -v12, v12, s1
	;; [unrolled: 1-line block ×5, first 2 shown]
	ds_bpermute_b32 v15, v2, v16
	v_cndmask_b32_e64 v8, -v8, v8, s1
	v_cndmask_b32_e64 v9, -v9, v9, s1
	ds_bpermute_b32 v90, v2, v17
	ds_bpermute_b32 v93, v2, v10
	s_waitcnt lgkmcnt(7)
	v_add_f32_e32 v84, v7, v84
	v_dual_add_f32 v8, v8, v91 :: v_dual_add_f32 v9, v9, v92
	ds_bpermute_b32 v91, v2, v18
	ds_bpermute_b32 v92, v2, v19
	s_waitcnt lgkmcnt(8)
	v_add_f32_e32 v86, v12, v86
	v_cndmask_b32_e64 v7, -v16, v16, s1
	v_cndmask_b32_e64 v12, -v18, v18, s1
	;; [unrolled: 1-line block ×3, first 2 shown]
	ds_bpermute_b32 v18, v2, v21
	ds_bpermute_b32 v19, v2, v22
	s_waitcnt lgkmcnt(8)
	v_add_f32_e32 v13, v13, v87
	ds_bpermute_b32 v87, v2, v24
	v_add_f32_e32 v85, v11, v85
	v_cndmask_b32_e64 v11, -v17, v17, s1
	s_waitcnt lgkmcnt(7)
	v_add_f32_e32 v15, v7, v15
	v_cndmask_b32_e64 v7, -v21, v21, s1
	ds_bpermute_b32 v21, v2, v26
	v_cndmask_b32_e64 v10, -v10, v10, s1
	s_waitcnt lgkmcnt(7)
	v_add_f32_e32 v90, v11, v90
	v_cndmask_b32_e64 v11, -v22, v22, s1
	ds_bpermute_b32 v22, v2, v27
	v_cndmask_b32_e64 v17, -v20, v20, s1
	v_add_f32_e32 v14, v14, v88
	s_waitcnt lgkmcnt(5)
	v_add_f32_e32 v92, v16, v92
	v_cndmask_b32_e64 v16, -v24, v24, s1
	ds_bpermute_b32 v24, v2, v29
	ds_bpermute_b32 v88, v2, v25
	s_waitcnt lgkmcnt(6)
	v_dual_add_f32 v91, v12, v91 :: v_dual_add_f32 v18, v7, v18
	s_waitcnt lgkmcnt(5)
	v_add_f32_e32 v94, v11, v19
	v_cndmask_b32_e64 v7, -v26, v26, s1
	ds_bpermute_b32 v19, v2, v31
	s_waitcnt lgkmcnt(5)
	v_add_f32_e32 v87, v16, v87
	v_cndmask_b32_e64 v16, -v29, v29, s1
	v_cndmask_b32_e64 v11, -v27, v27, s1
	ds_bpermute_b32 v27, v2, v35
	s_waitcnt lgkmcnt(5)
	v_add_f32_e32 v29, v7, v21
	ds_bpermute_b32 v21, v2, v38
	v_cndmask_b32_e64 v7, -v31, v31, s1
	v_cndmask_b32_e64 v12, -v23, v23, s1
	ds_bpermute_b32 v26, v2, v34
	s_mul_i32 s0, s26, s28
	s_waitcnt lgkmcnt(5)
	v_add_f32_e32 v97, v16, v24
	ds_bpermute_b32 v24, v2, v41
	v_cndmask_b32_e64 v16, -v35, v35, s1
	s_waitcnt lgkmcnt(4)
	v_add_f32_e32 v31, v7, v19
	v_cndmask_b32_e64 v7, -v38, v38, s1
	ds_bpermute_b32 v19, v2, v43
	s_waitcnt lgkmcnt(4)
	v_add_f32_e32 v35, v16, v27
	v_cndmask_b32_e64 v16, -v41, v41, s1
	s_waitcnt lgkmcnt(3)
	v_add_f32_e32 v38, v7, v21
	ds_bpermute_b32 v21, v2, v48
	v_cndmask_b32_e64 v7, -v43, v43, s1
	ds_bpermute_b32 v27, v2, v46
	ds_bpermute_b32 v41, v3, v29
	v_cndmask_b32_e64 v29, -v29, v29, s18
	s_waitcnt lgkmcnt(4)
	v_add_f32_e32 v102, v16, v24
	v_cndmask_b32_e64 v16, -v46, v46, s1
	ds_bpermute_b32 v46, v3, v31
	ds_bpermute_b32 v24, v2, v51
	s_waitcnt lgkmcnt(5)
	v_add_f32_e32 v43, v7, v19
	v_cndmask_b32_e64 v7, -v48, v48, s1
	ds_bpermute_b32 v19, v2, v53
	s_waitcnt lgkmcnt(5)
	v_add_f32_e32 v48, v7, v21
	v_cndmask_b32_e64 v7, -v53, v53, s1
	v_add_f32_e32 v10, v10, v93
	ds_bpermute_b32 v93, v2, v20
	ds_bpermute_b32 v20, v2, v23
	;; [unrolled: 1-line block ×4, first 2 shown]
	s_waitcnt lgkmcnt(4)
	v_add_f32_e32 v53, v7, v19
	ds_bpermute_b32 v19, v2, v63
	v_cndmask_b32_e64 v7, -v58, v58, s1
	s_waitcnt lgkmcnt(4)
	v_add_f32_e32 v93, v17, v93
	v_cndmask_b32_e64 v17, -v25, v25, s1
	ds_bpermute_b32 v25, v2, v30
	s_waitcnt lgkmcnt(4)
	v_add_f32_e32 v95, v12, v20
	v_cndmask_b32_e64 v12, -v28, v28, s1
	ds_bpermute_b32 v28, v2, v37
	v_add_f32_e32 v88, v17, v88
	v_cndmask_b32_e64 v17, -v30, v30, s1
	ds_bpermute_b32 v20, v2, v33
	v_add_f32_e32 v30, v11, v22
	v_cndmask_b32_e64 v11, -v33, v33, s1
	s_waitcnt lgkmcnt(5)
	v_add_f32_e32 v96, v12, v23
	ds_bpermute_b32 v23, v2, v40
	v_cndmask_b32_e64 v12, -v34, v34, s1
	ds_bpermute_b32 v22, v2, v39
	s_waitcnt lgkmcnt(6)
	v_add_f32_e32 v58, v7, v21
	v_cndmask_b32_e64 v7, -v63, v63, s1
	v_add_f32_e32 v34, v12, v26
	v_cndmask_b32_e64 v12, -v40, v40, s1
	ds_bpermute_b32 v26, v2, v45
	s_waitcnt lgkmcnt(5)
	v_dual_add_f32 v63, v7, v19 :: v_dual_add_f32 v98, v17, v25
	v_cndmask_b32_e64 v17, -v37, v37, s1
	ds_bpermute_b32 v25, v2, v42
	ds_bpermute_b32 v19, v3, v9
	s_waitcnt lgkmcnt(6)
	v_add_f32_e32 v99, v17, v28
	ds_bpermute_b32 v28, v2, v47
	v_cndmask_b32_e64 v17, -v42, v42, s1
	s_waitcnt lgkmcnt(6)
	v_add_f32_e32 v33, v11, v20
	s_waitcnt lgkmcnt(5)
	v_add_f32_e32 v101, v12, v23
	ds_bpermute_b32 v20, v2, v44
	v_cndmask_b32_e64 v11, -v39, v39, s1
	ds_bpermute_b32 v39, v3, v87
	v_cndmask_b32_e64 v12, -v45, v45, s1
	s_waitcnt lgkmcnt(6)
	v_add_f32_e32 v100, v11, v22
	ds_bpermute_b32 v22, v2, v49
	v_cndmask_b32_e64 v11, -v44, v44, s1
	s_waitcnt lgkmcnt(6)
	v_add_f32_e32 v105, v12, v26
	ds_bpermute_b32 v26, v2, v55
	s_waitcnt lgkmcnt(6)
	v_add_f32_e32 v103, v17, v25
	v_cndmask_b32_e64 v17, -v47, v47, s1
	ds_bpermute_b32 v25, v2, v52
	ds_bpermute_b32 v23, v2, v50
	v_cndmask_b32_e64 v12, -v50, v50, s1
	ds_bpermute_b32 v50, v3, v99
	s_waitcnt lgkmcnt(7)
	v_add_f32_e32 v107, v17, v28
	ds_bpermute_b32 v28, v2, v57
	v_cndmask_b32_e64 v17, -v52, v52, s1
	s_waitcnt lgkmcnt(7)
	v_add_f32_e32 v104, v11, v20
	ds_bpermute_b32 v20, v2, v54
	v_cndmask_b32_e64 v11, -v49, v49, s1
	ds_bpermute_b32 v44, v3, v97
	ds_bpermute_b32 v49, v3, v35
	;; [unrolled: 1-line block ×3, first 2 shown]
	s_waitcnt lgkmcnt(9)
	v_add_f32_e32 v108, v11, v22
	ds_bpermute_b32 v22, v2, v59
	v_cndmask_b32_e64 v11, -v54, v54, s1
	ds_bpermute_b32 v54, v3, v43
	s_waitcnt lgkmcnt(9)
	v_add_f32_e32 v111, v17, v25
	v_cndmask_b32_e64 v17, -v57, v57, s1
	ds_bpermute_b32 v25, v2, v62
	s_waitcnt lgkmcnt(9)
	v_add_f32_e32 v109, v12, v23
	ds_bpermute_b32 v23, v2, v60
	v_cndmask_b32_e64 v12, -v55, v55, s1
	s_waitcnt lgkmcnt(8)
	v_add_f32_e32 v115, v17, v28
	ds_bpermute_b32 v28, v2, v70
	v_cndmask_b32_e64 v17, -v62, v62, s1
	s_waitcnt lgkmcnt(8)
	v_add_f32_e32 v112, v11, v20
	ds_bpermute_b32 v20, v2, v64
	v_add_f32_e32 v113, v12, v26
	v_cndmask_b32_e64 v11, -v59, v59, s1
	ds_bpermute_b32 v26, v2, v66
	v_cndmask_b32_e64 v12, -v60, v60, s1
	ds_bpermute_b32 v21, v3, v0
	ds_bpermute_b32 v55, v3, v107
	s_waitcnt lgkmcnt(8)
	v_add_f32_e32 v116, v11, v22
	ds_bpermute_b32 v22, v3, v4
	v_cndmask_b32_e64 v11, -v64, v64, s1
	v_cndmask_b32_e64 v0, -v0, v0, s18
	;; [unrolled: 1-line block ×3, first 2 shown]
	s_waitcnt lgkmcnt(7)
	v_add_f32_e32 v119, v17, v25
	v_cndmask_b32_e64 v17, -v70, v70, s1
	s_waitcnt lgkmcnt(6)
	v_add_f32_e32 v117, v12, v23
	ds_bpermute_b32 v23, v3, v5
	v_cndmask_b32_e64 v12, -v66, v66, s1
	ds_bpermute_b32 v25, v3, v84
	s_waitcnt lgkmcnt(7)
	v_add_f32_e32 v120, v17, v28
	ds_bpermute_b32 v28, v3, v93
	v_add_f32_e32 v106, v16, v27
	ds_bpermute_b32 v27, v2, v56
	v_cndmask_b32_e64 v16, -v51, v51, s1
	s_waitcnt lgkmcnt(8)
	v_add_f32_e32 v66, v11, v20
	ds_bpermute_b32 v17, v3, v8
	ds_bpermute_b32 v20, v3, v10
	v_cndmask_b32_e64 v11, -v5, v5, s18
	v_add_f32_e32 v110, v16, v24
	v_cndmask_b32_e64 v16, -v56, v56, s1
	ds_bpermute_b32 v24, v2, v61
	s_waitcnt lgkmcnt(7)
	v_add_f32_e32 v5, v7, v22
	ds_bpermute_b32 v64, v3, v113
	v_add_f32_e32 v4, v0, v21
	v_cndmask_b32_e64 v0, -v89, v89, s18
	v_cndmask_b32_e64 v21, -v84, v84, s18
	ds_bpermute_b32 v22, v3, v85
	ds_bpermute_b32 v40, v3, v88
	;; [unrolled: 1-line block ×4, first 2 shown]
	s_waitcnt lgkmcnt(8)
	v_add_f32_e32 v114, v16, v27
	ds_bpermute_b32 v27, v2, v68
	v_cndmask_b32_e64 v16, -v61, v61, s1
	ds_bpermute_b32 v2, v2, v1
	ds_bpermute_b32 v61, v3, v53
	v_cndmask_b32_e64 v1, -v1, v1, s1
	s_waitcnt lgkmcnt(8)
	v_add_f32_e32 v118, v16, v24
	v_cndmask_b32_e64 v16, -v68, v68, s1
	ds_bpermute_b32 v24, v3, v6
	v_add_f32_e32 v68, v12, v26
	v_cndmask_b32_e64 v12, -v6, v6, s18
	ds_bpermute_b32 v26, v3, v14
	s_mul_hi_u32 s1, s26, s15
	s_delay_alu instid0(SALU_CYCLE_1) | instskip(SKIP_1) | instid1(SALU_CYCLE_1)
	s_add_i32 s0, s1, s0
	s_mul_i32 s1, s27, s15
	s_add_i32 s1, s0, s1
	s_mul_i32 s0, s26, s15
	s_waitcnt lgkmcnt(4)
	v_add_f32_e32 v70, v16, v27
	ds_bpermute_b32 v16, v3, v89
	ds_bpermute_b32 v27, v3, v15
	s_waitcnt lgkmcnt(5)
	v_add_f32_e32 v1, v1, v2
	v_cndmask_b32_e64 v2, -v8, v8, s18
	s_lshl_b64 s[0:1], s[0:1], 2
	s_delay_alu instid0(SALU_CYCLE_1)
	s_add_u32 s0, s22, s0
	s_addc_u32 s1, s23, s1
	s_waitcnt lgkmcnt(3)
	v_add_f32_e32 v7, v12, v24
	ds_bpermute_b32 v24, v3, v13
	v_cndmask_b32_e64 v12, -v10, v10, s18
	s_waitcnt lgkmcnt(2)
	v_add_f32_e32 v8, v0, v16
	v_cndmask_b32_e64 v0, -v85, v85, s18
	ds_bpermute_b32 v85, v3, v115
	v_add_f32_e32 v6, v11, v23
	v_cndmask_b32_e64 v11, -v9, v9, s18
	ds_bpermute_b32 v23, v3, v86
	v_add_f32_e32 v9, v2, v17
	ds_bpermute_b32 v37, v3, v18
	v_cndmask_b32_e64 v16, -v13, v13, s18
	v_dual_add_f32 v10, v11, v19 :: v_dual_add_f32 v11, v12, v20
	v_add_f32_e32 v12, v21, v25
	ds_bpermute_b32 v20, v3, v90
	ds_bpermute_b32 v25, v3, v92
	v_cndmask_b32_e64 v17, -v14, v14, s18
	v_cndmask_b32_e64 v19, -v15, v15, s18
	ds_bpermute_b32 v21, v3, v91
	s_waitcnt lgkmcnt(6)
	v_add_f32_e32 v15, v16, v24
	v_cndmask_b32_e64 v2, -v86, v86, s18
	v_dual_add_f32 v16, v17, v26 :: v_dual_add_f32 v17, v19, v27
	ds_bpermute_b32 v26, v3, v94
	ds_bpermute_b32 v27, v3, v95
	v_add_f32_e32 v13, v0, v22
	v_cndmask_b32_e64 v0, -v90, v90, s18
	v_cndmask_b32_e64 v22, -v92, v92, s18
	;; [unrolled: 1-line block ×3, first 2 shown]
	s_waitcnt lgkmcnt(6)
	v_add_f32_e32 v14, v2, v23
	v_cndmask_b32_e64 v2, -v91, v91, s18
	ds_bpermute_b32 v45, v3, v98
	v_cndmask_b32_e64 v23, -v93, v93, s18
	ds_bpermute_b32 v47, v3, v34
	s_waitcnt lgkmcnt(6)
	v_add_f32_e32 v18, v0, v20
	s_waitcnt lgkmcnt(5)
	v_add_f32_e32 v20, v22, v25
	v_add_f32_e32 v22, v24, v37
	ds_bpermute_b32 v37, v3, v30
	s_waitcnt lgkmcnt(5)
	v_add_f32_e32 v19, v2, v21
	v_cndmask_b32_e64 v0, -v94, v94, s18
	v_cndmask_b32_e64 v2, -v95, v95, s18
	ds_bpermute_b32 v42, v3, v96
	v_add_f32_e32 v21, v23, v28
	v_cndmask_b32_e64 v25, -v87, v87, s18
	v_cndmask_b32_e64 v28, -v88, v88, s18
	s_waitcnt lgkmcnt(4)
	v_dual_add_f32 v23, v0, v26 :: v_dual_add_f32 v24, v2, v27
	v_add_f32_e32 v27, v29, v41
	ds_bpermute_b32 v41, v3, v33
	ds_bpermute_b32 v51, v3, v38
	v_dual_add_f32 v25, v25, v39 :: v_dual_add_f32 v26, v28, v40
	v_cndmask_b32_e64 v0, -v30, v30, s18
	v_cndmask_b32_e64 v30, -v97, v97, s18
	;; [unrolled: 1-line block ×5, first 2 shown]
	s_waitcnt lgkmcnt(3)
	v_add_f32_e32 v28, v0, v37
	v_dual_add_f32 v30, v30, v44 :: v_dual_add_f32 v31, v39, v45
	v_add_f32_e32 v37, v40, v46
	ds_bpermute_b32 v44, v3, v100
	ds_bpermute_b32 v45, v3, v101
	;; [unrolled: 1-line block ×3, first 2 shown]
	s_waitcnt lgkmcnt(5)
	v_add_f32_e32 v29, v2, v42
	v_cndmask_b32_e64 v0, -v33, v33, s18
	v_cndmask_b32_e64 v2, -v34, v34, s18
	;; [unrolled: 1-line block ×5, first 2 shown]
	s_waitcnt lgkmcnt(4)
	v_dual_add_f32 v38, v0, v41 :: v_dual_add_f32 v39, v2, v47
	s_delay_alu instid0(VALU_DEP_3)
	v_dual_add_f32 v40, v33, v49 :: v_dual_add_f32 v41, v34, v50
	s_waitcnt lgkmcnt(3)
	v_add_f32_e32 v42, v35, v51
	v_cndmask_b32_e64 v35, -v43, v43, s18
	ds_bpermute_b32 v49, v3, v104
	ds_bpermute_b32 v50, v3, v105
	;; [unrolled: 1-line block ×3, first 2 shown]
	v_cndmask_b32_e64 v0, -v100, v100, s18
	v_cndmask_b32_e64 v2, -v101, v101, s18
	;; [unrolled: 1-line block ×3, first 2 shown]
	ds_bpermute_b32 v56, v3, v48
	v_add_f32_e32 v47, v35, v54
	ds_bpermute_b32 v54, v3, v108
	ds_bpermute_b32 v59, v3, v110
	v_cndmask_b32_e64 v34, -v103, v103, s18
	s_waitcnt lgkmcnt(7)
	v_dual_add_f32 v43, v0, v44 :: v_dual_add_f32 v44, v2, v45
	s_waitcnt lgkmcnt(6)
	v_add_f32_e32 v45, v33, v46
	ds_bpermute_b32 v62, v3, v112
	ds_bpermute_b32 v84, v3, v114
	v_add_f32_e32 v46, v34, v52
	v_cndmask_b32_e64 v0, -v104, v104, s18
	v_cndmask_b32_e64 v2, -v105, v105, s18
	;; [unrolled: 1-line block ×5, first 2 shown]
	s_waitcnt lgkmcnt(6)
	v_dual_add_f32 v48, v0, v49 :: v_dual_add_f32 v49, v2, v50
	s_waitcnt lgkmcnt(5)
	v_add_f32_e32 v50, v33, v51
	v_add_f32_e32 v51, v34, v55
	v_cndmask_b32_e64 v0, -v108, v108, s18
	v_cndmask_b32_e64 v2, -v109, v109, s18
	;; [unrolled: 1-line block ×4, first 2 shown]
	ds_bpermute_b32 v86, v3, v58
	s_waitcnt lgkmcnt(5)
	v_add_f32_e32 v52, v35, v56
	v_cndmask_b32_e64 v35, -v53, v53, s18
	s_waitcnt lgkmcnt(4)
	v_dual_add_f32 v53, v0, v54 :: v_dual_add_f32 v54, v2, v57
	s_waitcnt lgkmcnt(3)
	v_dual_add_f32 v55, v33, v59 :: v_dual_add_f32 v56, v34, v60
	v_cndmask_b32_e64 v0, -v112, v112, s18
	v_cndmask_b32_e64 v2, -v113, v113, s18
	;; [unrolled: 1-line block ×4, first 2 shown]
	ds_bpermute_b32 v87, v3, v116
	v_add_f32_e32 v57, v35, v61
	v_cndmask_b32_e64 v35, -v58, v58, s18
	ds_bpermute_b32 v88, v3, v117
	ds_bpermute_b32 v89, v3, v118
	;; [unrolled: 1-line block ×4, first 2 shown]
	s_waitcnt lgkmcnt(7)
	v_dual_add_f32 v58, v0, v62 :: v_dual_add_f32 v59, v2, v64
	s_waitcnt lgkmcnt(6)
	v_dual_add_f32 v60, v33, v84 :: v_dual_add_f32 v61, v34, v85
	ds_bpermute_b32 v0, v3, v66
	ds_bpermute_b32 v2, v3, v68
	;; [unrolled: 1-line block ×5, first 2 shown]
	s_waitcnt lgkmcnt(10)
	v_add_f32_e32 v62, v35, v86
	v_cndmask_b32_e64 v35, -v116, v116, s18
	v_cndmask_b32_e64 v64, -v117, v117, s18
	;; [unrolled: 1-line block ×5, first 2 shown]
	s_waitcnt lgkmcnt(9)
	v_add_f32_e32 v63, v35, v87
	v_cndmask_b32_e64 v35, -v66, v66, s18
	v_cndmask_b32_e64 v66, -v68, v68, s18
	;; [unrolled: 1-line block ×4, first 2 shown]
	s_waitcnt lgkmcnt(8)
	v_add_f32_e32 v64, v64, v88
	s_waitcnt lgkmcnt(6)
	v_dual_add_f32 v84, v84, v89 :: v_dual_add_f32 v85, v85, v90
	s_waitcnt lgkmcnt(4)
	v_dual_add_f32 v86, v86, v91 :: v_dual_add_f32 v87, v35, v0
	;; [unrolled: 2-line block ×3, first 2 shown]
	v_cndmask_b32_e64 v70, -v120, v120, s18
	s_waitcnt lgkmcnt(0)
	v_add_f32_e32 v91, v1, v3
	ds_store_b128 v32, v[4:7]
	ds_store_b128 v32, v[8:11] offset:4096
	ds_store_b128 v32, v[12:15] offset:8192
	;; [unrolled: 1-line block ×7, first 2 shown]
	s_waitcnt lgkmcnt(0)
	s_barrier
	buffer_gl0_inv
	ds_load_b128 v[24:27], v36
	ds_load_b128 v[28:31], v36 offset:4096
	ds_load_b128 v[16:19], v36 offset:8192
	;; [unrolled: 1-line block ×7, first 2 shown]
	v_add_f32_e32 v90, v70, v34
	s_waitcnt lgkmcnt(0)
	s_barrier
	buffer_gl0_inv
	v_add_f32_e32 v105, v25, v29
	v_dual_add_f32 v107, v27, v31 :: v_dual_add_f32 v108, v16, v20
	v_add_f32_e32 v109, v17, v21
	v_add_f32_e32 v113, v9, v13
	;; [unrolled: 1-line block ×4, first 2 shown]
	v_dual_add_f32 v119, v3, v7 :: v_dual_add_f32 v110, v18, v22
	v_dual_add_f32 v111, v19, v23 :: v_dual_add_f32 v112, v8, v12
	s_delay_alu instid0(VALU_DEP_3) | instskip(NEXT) | instid1(VALU_DEP_3)
	v_add_f32_e32 v93, v113, v117
	v_add_f32_e32 v95, v115, v119
	ds_store_b128 v32, v[41:44]
	ds_store_b128 v32, v[45:48] offset:4096
	ds_store_b128 v32, v[49:52] offset:8192
	;; [unrolled: 1-line block ×7, first 2 shown]
	s_waitcnt lgkmcnt(0)
	s_barrier
	buffer_gl0_inv
	ds_load_b128 v[56:59], v36
	ds_load_b128 v[60:63], v36 offset:4096
	ds_load_b128 v[48:51], v36 offset:8192
	;; [unrolled: 1-line block ×7, first 2 shown]
	v_add_f32_e32 v114, v10, v14
	v_add_f32_e32 v116, v0, v4
	v_dual_add_f32 v118, v2, v6 :: v_dual_add_f32 v89, v105, v109
	s_delay_alu instid0(VALU_DEP_2) | instskip(NEXT) | instid1(VALU_DEP_2)
	v_dual_add_f32 v91, v107, v111 :: v_dual_add_f32 v92, v112, v116
	v_add_f32_e32 v94, v114, v118
	s_delay_alu instid0(VALU_DEP_3) | instskip(SKIP_1) | instid1(VALU_DEP_3)
	v_add_f32_e32 v66, v89, v93
	s_waitcnt lgkmcnt(6)
	v_dual_add_f32 v70, v91, v95 :: v_dual_add_f32 v121, v57, v61
	v_add_f32_e32 v123, v59, v63
	s_waitcnt lgkmcnt(4)
	v_add_f32_e32 v125, v49, v53
	v_add_f32_e32 v127, v51, v55
	s_waitcnt lgkmcnt(2)
	v_add_f32_e32 v129, v41, v45
	;; [unrolled: 3-line block ×3, first 2 shown]
	v_dual_add_f32 v135, v35, v39 :: v_dual_add_f32 v120, v56, v60
	v_add_f32_e32 v122, v58, v62
	v_add_f32_e32 v124, v48, v52
	s_delay_alu instid0(VALU_DEP_3)
	v_dual_add_f32 v126, v50, v54 :: v_dual_add_f32 v103, v131, v135
	v_add_f32_e32 v128, v40, v44
	v_add_f32_e32 v130, v42, v46
	;; [unrolled: 1-line block ×3, first 2 shown]
	v_dual_add_f32 v134, v34, v38 :: v_dual_add_f32 v97, v121, v125
	v_dual_add_f32 v99, v123, v127 :: v_dual_add_f32 v106, v26, v30
	;; [unrolled: 1-line block ×3, first 2 shown]
	v_add_f32_e32 v96, v120, v124
	v_add_f32_e32 v98, v122, v126
	s_delay_alu instid0(VALU_DEP_3) | instskip(NEXT) | instid1(VALU_DEP_4)
	v_dual_add_f32 v100, v128, v132 :: v_dual_add_f32 v85, v97, v101
	v_add_f32_e32 v88, v104, v108
	v_dual_add_f32 v102, v130, v134 :: v_dual_add_f32 v87, v99, v103
	v_add_f32_e32 v90, v106, v110
	s_delay_alu instid0(VALU_DEP_4) | instskip(NEXT) | instid1(VALU_DEP_4)
	v_add_f32_e32 v84, v96, v100
	v_add_f32_e32 v64, v88, v92
	s_delay_alu instid0(VALU_DEP_4) | instskip(NEXT) | instid1(VALU_DEP_4)
	v_add_f32_e32 v86, v98, v102
	v_add_f32_e32 v68, v90, v94
	s_and_saveexec_b32 s15, s12
	s_cbranch_execz .LBB11_34
; %bb.33:
	s_delay_alu instid0(VALU_DEP_1) | instskip(SKIP_1) | instid1(VALU_DEP_2)
	v_dual_add_f32 v136, v87, v70 :: v_dual_add_f32 v137, v86, v68
	v_dual_add_f32 v140, v85, v66 :: v_dual_add_f32 v141, v84, v64
	v_dual_mul_f32 v139, s21, v136 :: v_dual_mul_f32 v138, s21, v137
	s_delay_alu instid0(VALU_DEP_2)
	v_dual_mul_f32 v137, s21, v140 :: v_dual_mul_f32 v136, s21, v141
	global_store_b128 v82, v[136:139], s[0:1]
.LBB11_34:
	s_or_b32 exec_lo, exec_lo, s15
	v_dual_sub_f32 v28, v24, v28 :: v_dual_sub_f32 v29, v25, v29
	v_dual_sub_f32 v30, v26, v30 :: v_dual_sub_f32 v31, v27, v31
	;; [unrolled: 1-line block ×16, first 2 shown]
	v_dual_add_f32 v16, v28, v136 :: v_dual_add_f32 v17, v29, v137
	v_dual_add_f32 v18, v30, v138 :: v_dual_add_f32 v19, v31, v139
	;; [unrolled: 1-line block ×10, first 2 shown]
	s_delay_alu instid0(VALU_DEP_4) | instskip(NEXT) | instid1(VALU_DEP_4)
	v_dual_add_f32 v4, v24, v32 :: v_dual_add_f32 v5, v25, v33
	v_dual_add_f32 v6, v26, v34 :: v_dual_add_f32 v7, v27, v35
	s_and_saveexec_b32 s12, s8
	s_cbranch_execz .LBB11_36
; %bb.35:
	s_delay_alu instid0(VALU_DEP_2) | instskip(NEXT) | instid1(VALU_DEP_2)
	v_dual_add_f32 v8, v4, v0 :: v_dual_add_f32 v9, v5, v1
	v_dual_add_f32 v10, v6, v2 :: v_dual_add_f32 v11, v7, v3
	s_delay_alu instid0(VALU_DEP_2) | instskip(NEXT) | instid1(VALU_DEP_2)
	v_dual_mul_f32 v8, s21, v8 :: v_dual_mul_f32 v9, s21, v9
	v_dual_mul_f32 v10, s21, v10 :: v_dual_mul_f32 v11, s21, v11
	global_store_b128 v78, v[8:11], s[0:1]
.LBB11_36:
	s_or_b32 exec_lo, exec_lo, s12
	v_dual_sub_f32 v56, v104, v108 :: v_dual_sub_f32 v57, v105, v109
	v_dual_sub_f32 v58, v106, v110 :: v_dual_sub_f32 v59, v107, v111
	;; [unrolled: 1-line block ×7, first 2 shown]
	v_dual_sub_f32 v106, v128, v132 :: v_dual_add_f32 v9, v57, v61
	v_dual_sub_f32 v108, v130, v134 :: v_dual_add_f32 v11, v59, v63
	s_delay_alu instid0(VALU_DEP_3) | instskip(SKIP_1) | instid1(VALU_DEP_4)
	v_dual_add_f32 v8, v56, v60 :: v_dual_add_f32 v13, v82, v107
	v_dual_add_f32 v10, v58, v62 :: v_dual_add_f32 v15, v105, v109
	v_add_f32_e32 v12, v78, v106
	s_delay_alu instid0(VALU_DEP_4)
	v_add_f32_e32 v14, v104, v108
	s_and_saveexec_b32 s8, s6
	s_cbranch_execz .LBB11_38
; %bb.37:
	s_delay_alu instid0(VALU_DEP_2) | instskip(NEXT) | instid1(VALU_DEP_2)
	v_dual_add_f32 v44, v12, v8 :: v_dual_add_f32 v45, v13, v9
	v_dual_add_f32 v46, v14, v10 :: v_dual_add_f32 v47, v15, v11
	s_delay_alu instid0(VALU_DEP_2) | instskip(NEXT) | instid1(VALU_DEP_2)
	v_dual_mul_f32 v44, s21, v44 :: v_dual_mul_f32 v45, s21, v45
	v_dual_mul_f32 v46, s21, v46 :: v_dual_mul_f32 v47, s21, v47
	global_store_b128 v76, v[44:47], s[0:1]
.LBB11_38:
	s_or_b32 exec_lo, exec_lo, s8
	v_dual_sub_f32 v76, v28, v136 :: v_dual_sub_f32 v111, v30, v138
	v_dual_sub_f32 v110, v29, v137 :: v_dual_sub_f32 v113, v140, v144
	;; [unrolled: 1-line block ×7, first 2 shown]
	s_delay_alu instid0(VALU_DEP_4) | instskip(NEXT) | instid1(VALU_DEP_4)
	v_dual_sub_f32 v122, v41, v37 :: v_dual_add_f32 v29, v110, v114
	v_dual_sub_f32 v124, v43, v39 :: v_dual_add_f32 v31, v112, v116
	s_delay_alu instid0(VALU_DEP_2) | instskip(NEXT) | instid1(VALU_DEP_2)
	v_dual_add_f32 v28, v76, v113 :: v_dual_add_f32 v37, v118, v122
	v_dual_add_f32 v30, v111, v115 :: v_dual_add_f32 v39, v120, v124
	v_add_f32_e32 v36, v117, v121
	v_add_f32_e32 v38, v119, v123
	s_and_saveexec_b32 s6, vcc_lo
	s_cbranch_execz .LBB11_40
; %bb.39:
	s_delay_alu instid0(VALU_DEP_2) | instskip(NEXT) | instid1(VALU_DEP_2)
	v_dual_add_f32 v40, v36, v28 :: v_dual_add_f32 v41, v37, v29
	v_dual_add_f32 v42, v38, v30 :: v_dual_add_f32 v43, v39, v31
	s_delay_alu instid0(VALU_DEP_2) | instskip(NEXT) | instid1(VALU_DEP_2)
	v_dual_mul_f32 v40, s21, v40 :: v_dual_mul_f32 v41, s21, v41
	v_dual_mul_f32 v42, s21, v42 :: v_dual_mul_f32 v43, s21, v43
	global_store_b128 v71, v[40:43], s[0:1]
.LBB11_40:
	s_or_b32 exec_lo, exec_lo, s6
	v_dual_sub_f32 v44, v88, v92 :: v_dual_sub_f32 v45, v89, v93
	v_dual_sub_f32 v46, v90, v94 :: v_dual_sub_f32 v47, v91, v95
	v_dual_sub_f32 v52, v96, v100 :: v_dual_sub_f32 v53, v97, v101
	v_dual_sub_f32 v54, v98, v102 :: v_dual_sub_f32 v55, v99, v103
	s_and_saveexec_b32 s6, s2
	s_cbranch_execz .LBB11_42
; %bb.41:
	s_delay_alu instid0(VALU_DEP_2) | instskip(NEXT) | instid1(VALU_DEP_2)
	v_dual_add_f32 v40, v44, v52 :: v_dual_add_f32 v41, v45, v53
	v_dual_add_f32 v42, v46, v54 :: v_dual_add_f32 v43, v47, v55
	s_delay_alu instid0(VALU_DEP_2) | instskip(NEXT) | instid1(VALU_DEP_2)
	v_dual_mul_f32 v40, s21, v40 :: v_dual_mul_f32 v41, s21, v41
	v_dual_mul_f32 v42, s21, v42 :: v_dual_mul_f32 v43, s21, v43
	global_store_b128 v72, v[40:43], s[0:1]
.LBB11_42:
	s_or_b32 exec_lo, exec_lo, s6
	v_dual_sub_f32 v40, v16, v20 :: v_dual_sub_f32 v41, v17, v21
	v_dual_sub_f32 v42, v18, v22 :: v_dual_sub_f32 v43, v19, v23
	v_dual_sub_f32 v48, v24, v32 :: v_dual_sub_f32 v49, v25, v33
	v_dual_sub_f32 v50, v26, v34 :: v_dual_sub_f32 v51, v27, v35
	s_and_saveexec_b32 s2, s3
	;; [unrolled: 16-line block ×3, first 2 shown]
	s_cbranch_execz .LBB11_46
; %bb.45:
	s_delay_alu instid0(VALU_DEP_1) | instskip(NEXT) | instid1(VALU_DEP_2)
	v_dual_add_f32 v16, v24, v32 :: v_dual_add_f32 v17, v25, v33
	v_dual_add_f32 v18, v26, v34 :: v_dual_add_f32 v19, v27, v35
	s_delay_alu instid0(VALU_DEP_2) | instskip(NEXT) | instid1(VALU_DEP_2)
	v_dual_mul_f32 v16, s21, v16 :: v_dual_mul_f32 v17, s21, v17
	v_dual_mul_f32 v18, s21, v18 :: v_dual_mul_f32 v19, s21, v19
	global_store_b128 v74, v[16:19], s[0:1]
.LBB11_46:
	s_or_b32 exec_lo, exec_lo, s2
	v_dual_sub_f32 v16, v76, v113 :: v_dual_sub_f32 v17, v110, v114
	v_dual_sub_f32 v18, v111, v115 :: v_dual_sub_f32 v19, v112, v116
	;; [unrolled: 1-line block ×4, first 2 shown]
	s_and_saveexec_b32 s2, s5
	s_cbranch_execnz .LBB11_56
; %bb.47:
	s_or_b32 exec_lo, exec_lo, s2
	s_and_saveexec_b32 s2, s7
	s_cbranch_execnz .LBB11_57
.LBB11_48:
	s_or_b32 exec_lo, exec_lo, s2
	s_and_saveexec_b32 s2, s9
	s_cbranch_execnz .LBB11_58
.LBB11_49:
	s_or_b32 exec_lo, exec_lo, s2
	s_and_saveexec_b32 s2, s10
	s_cbranch_execnz .LBB11_59
.LBB11_50:
	s_or_b32 exec_lo, exec_lo, s2
	s_and_saveexec_b32 s2, s11
	s_cbranch_execnz .LBB11_60
.LBB11_51:
	s_or_b32 exec_lo, exec_lo, s2
	s_and_saveexec_b32 s2, s13
	s_cbranch_execnz .LBB11_61
.LBB11_52:
	s_or_b32 exec_lo, exec_lo, s2
	s_and_saveexec_b32 s2, s14
	s_cbranch_execnz .LBB11_62
.LBB11_53:
	s_or_b32 exec_lo, exec_lo, s2
	s_and_saveexec_b32 s2, s16
	s_cbranch_execnz .LBB11_63
.LBB11_54:
	s_or_b32 exec_lo, exec_lo, s2
	s_and_saveexec_b32 s2, s17
	s_cbranch_execnz .LBB11_64
.LBB11_55:
	s_nop 0
	s_sendmsg sendmsg(MSG_DEALLOC_VGPRS)
	s_endpgm
.LBB11_56:
	s_delay_alu instid0(VALU_DEP_2) | instskip(NEXT) | instid1(VALU_DEP_2)
	v_dual_add_f32 v56, v16, v20 :: v_dual_add_f32 v57, v17, v21
	v_dual_add_f32 v58, v18, v22 :: v_dual_add_f32 v59, v19, v23
	s_delay_alu instid0(VALU_DEP_2) | instskip(NEXT) | instid1(VALU_DEP_2)
	v_dual_mul_f32 v56, s21, v56 :: v_dual_mul_f32 v57, s21, v57
	v_dual_mul_f32 v58, s21, v58 :: v_dual_mul_f32 v59, s21, v59
	global_store_b128 v75, v[56:59], s[0:1]
	s_or_b32 exec_lo, exec_lo, s2
	s_and_saveexec_b32 s2, s7
	s_cbranch_execz .LBB11_48
.LBB11_57:
	v_dual_sub_f32 v56, v64, v84 :: v_dual_sub_f32 v57, v66, v85
	v_dual_sub_f32 v58, v68, v86 :: v_dual_sub_f32 v59, v70, v87
	s_delay_alu instid0(VALU_DEP_2) | instskip(NEXT) | instid1(VALU_DEP_2)
	v_dual_mul_f32 v56, s21, v56 :: v_dual_mul_f32 v57, s21, v57
	v_dual_mul_f32 v58, s21, v58 :: v_dual_mul_f32 v59, s21, v59
	global_store_b128 v77, v[56:59], s[0:1]
	s_or_b32 exec_lo, exec_lo, s2
	s_and_saveexec_b32 s2, s9
	s_cbranch_execz .LBB11_49
.LBB11_58:
	v_dual_sub_f32 v0, v0, v4 :: v_dual_sub_f32 v1, v1, v5
	v_dual_sub_f32 v2, v2, v6 :: v_dual_sub_f32 v3, v3, v7
	s_delay_alu instid0(VALU_DEP_2) | instskip(NEXT) | instid1(VALU_DEP_2)
	v_dual_mul_f32 v0, s21, v0 :: v_dual_mul_f32 v1, s21, v1
	v_dual_mul_f32 v2, s21, v2 :: v_dual_mul_f32 v3, s21, v3
	global_store_b128 v79, v[0:3], s[0:1]
	s_or_b32 exec_lo, exec_lo, s2
	s_and_saveexec_b32 s2, s10
	s_cbranch_execz .LBB11_50
.LBB11_59:
	v_dual_sub_f32 v0, v8, v12 :: v_dual_sub_f32 v1, v9, v13
	v_dual_sub_f32 v2, v10, v14 :: v_dual_sub_f32 v3, v11, v15
	s_delay_alu instid0(VALU_DEP_2) | instskip(NEXT) | instid1(VALU_DEP_2)
	v_dual_mul_f32 v0, s21, v0 :: v_dual_mul_f32 v1, s21, v1
	v_dual_mul_f32 v2, s21, v2 :: v_dual_mul_f32 v3, s21, v3
	global_store_b128 v80, v[0:3], s[0:1]
	s_or_b32 exec_lo, exec_lo, s2
	s_and_saveexec_b32 s2, s11
	s_cbranch_execz .LBB11_51
.LBB11_60:
	v_dual_sub_f32 v0, v28, v36 :: v_dual_sub_f32 v1, v29, v37
	v_dual_sub_f32 v2, v30, v38 :: v_dual_sub_f32 v3, v31, v39
	s_delay_alu instid0(VALU_DEP_2) | instskip(NEXT) | instid1(VALU_DEP_2)
	v_dual_mul_f32 v0, s21, v0 :: v_dual_mul_f32 v1, s21, v1
	v_dual_mul_f32 v2, s21, v2 :: v_dual_mul_f32 v3, s21, v3
	global_store_b128 v81, v[0:3], s[0:1]
	s_or_b32 exec_lo, exec_lo, s2
	s_and_saveexec_b32 s2, s13
	s_cbranch_execz .LBB11_52
.LBB11_61:
	v_dual_sub_f32 v0, v44, v52 :: v_dual_sub_f32 v1, v45, v53
	v_dual_sub_f32 v2, v46, v54 :: v_dual_sub_f32 v3, v47, v55
	s_delay_alu instid0(VALU_DEP_2) | instskip(NEXT) | instid1(VALU_DEP_2)
	v_dual_mul_f32 v0, s21, v0 :: v_dual_mul_f32 v1, s21, v1
	v_dual_mul_f32 v2, s21, v2 :: v_dual_mul_f32 v3, s21, v3
	global_store_b128 v83, v[0:3], s[0:1]
	s_or_b32 exec_lo, exec_lo, s2
	s_and_saveexec_b32 s2, s14
	s_cbranch_execz .LBB11_53
.LBB11_62:
	v_dual_mov_b32 v68, 0 :: v_dual_sub_f32 v1, v41, v49
	v_dual_sub_f32 v0, v40, v48 :: v_dual_sub_f32 v3, v43, v51
	v_sub_f32_e32 v2, v42, v50
	s_delay_alu instid0(VALU_DEP_3) | instskip(NEXT) | instid1(VALU_DEP_3)
	v_lshlrev_b64 v[4:5], 4, v[67:68]
	v_dual_mul_f32 v1, s21, v1 :: v_dual_mul_f32 v0, s21, v0
	s_delay_alu instid0(VALU_DEP_3) | instskip(NEXT) | instid1(VALU_DEP_3)
	v_dual_mul_f32 v3, s21, v3 :: v_dual_mul_f32 v2, s21, v2
	v_add_co_u32 v4, vcc_lo, s0, v4
	s_delay_alu instid0(VALU_DEP_4)
	v_add_co_ci_u32_e32 v5, vcc_lo, s1, v5, vcc_lo
	global_store_b128 v[4:5], v[0:3], off
	s_or_b32 exec_lo, exec_lo, s2
	s_and_saveexec_b32 s2, s16
	s_cbranch_execz .LBB11_54
.LBB11_63:
	v_dual_mov_b32 v66, 0 :: v_dual_sub_f32 v1, v25, v33
	v_dual_sub_f32 v0, v24, v32 :: v_dual_sub_f32 v3, v27, v35
	v_sub_f32_e32 v2, v26, v34
	s_delay_alu instid0(VALU_DEP_3) | instskip(NEXT) | instid1(VALU_DEP_3)
	v_lshlrev_b64 v[4:5], 4, v[65:66]
	v_dual_mul_f32 v1, s21, v1 :: v_dual_mul_f32 v0, s21, v0
	s_delay_alu instid0(VALU_DEP_3) | instskip(NEXT) | instid1(VALU_DEP_3)
	v_dual_mul_f32 v3, s21, v3 :: v_dual_mul_f32 v2, s21, v2
	v_add_co_u32 v4, vcc_lo, s0, v4
	s_delay_alu instid0(VALU_DEP_4)
	v_add_co_ci_u32_e32 v5, vcc_lo, s1, v5, vcc_lo
	global_store_b128 v[4:5], v[0:3], off
	s_or_b32 exec_lo, exec_lo, s2
	s_and_saveexec_b32 s2, s17
	s_cbranch_execz .LBB11_55
.LBB11_64:
	v_dual_mov_b32 v70, 0 :: v_dual_sub_f32 v1, v17, v21
	v_dual_sub_f32 v0, v16, v20 :: v_dual_sub_f32 v3, v19, v23
	v_sub_f32_e32 v2, v18, v22
	s_delay_alu instid0(VALU_DEP_3) | instskip(NEXT) | instid1(VALU_DEP_3)
	v_lshlrev_b64 v[4:5], 4, v[69:70]
	v_dual_mul_f32 v1, s21, v1 :: v_dual_mul_f32 v0, s21, v0
	s_delay_alu instid0(VALU_DEP_3) | instskip(NEXT) | instid1(VALU_DEP_3)
	v_dual_mul_f32 v3, s21, v3 :: v_dual_mul_f32 v2, s21, v2
	v_add_co_u32 v4, vcc_lo, s0, v4
	s_delay_alu instid0(VALU_DEP_4)
	v_add_co_ci_u32_e32 v5, vcc_lo, s1, v5, vcc_lo
	global_store_b128 v[4:5], v[0:3], off
	s_nop 0
	s_sendmsg sendmsg(MSG_DEALLOC_VGPRS)
	s_endpgm
	.section	.rodata,"a",@progbits
	.p2align	6, 0x0
	.amdhsa_kernel _Z30fast_hadamard_transform_kernelI37fast_hadamard_transform_kernel_traitsILi256ELi14EfEEv18HadamardParamsBase
		.amdhsa_group_segment_fixed_size 0
		.amdhsa_private_segment_fixed_size 0
		.amdhsa_kernarg_size 312
		.amdhsa_user_sgpr_count 15
		.amdhsa_user_sgpr_dispatch_ptr 0
		.amdhsa_user_sgpr_queue_ptr 0
		.amdhsa_user_sgpr_kernarg_segment_ptr 1
		.amdhsa_user_sgpr_dispatch_id 0
		.amdhsa_user_sgpr_private_segment_size 0
		.amdhsa_wavefront_size32 1
		.amdhsa_uses_dynamic_stack 0
		.amdhsa_enable_private_segment 0
		.amdhsa_system_sgpr_workgroup_id_x 1
		.amdhsa_system_sgpr_workgroup_id_y 0
		.amdhsa_system_sgpr_workgroup_id_z 0
		.amdhsa_system_sgpr_workgroup_info 0
		.amdhsa_system_vgpr_workitem_id 0
		.amdhsa_next_free_vgpr 152
		.amdhsa_next_free_sgpr 30
		.amdhsa_reserve_vcc 1
		.amdhsa_float_round_mode_32 0
		.amdhsa_float_round_mode_16_64 0
		.amdhsa_float_denorm_mode_32 3
		.amdhsa_float_denorm_mode_16_64 3
		.amdhsa_dx10_clamp 1
		.amdhsa_ieee_mode 1
		.amdhsa_fp16_overflow 0
		.amdhsa_workgroup_processor_mode 1
		.amdhsa_memory_ordered 1
		.amdhsa_forward_progress 0
		.amdhsa_shared_vgpr_count 0
		.amdhsa_exception_fp_ieee_invalid_op 0
		.amdhsa_exception_fp_denorm_src 0
		.amdhsa_exception_fp_ieee_div_zero 0
		.amdhsa_exception_fp_ieee_overflow 0
		.amdhsa_exception_fp_ieee_underflow 0
		.amdhsa_exception_fp_ieee_inexact 0
		.amdhsa_exception_int_div_zero 0
	.end_amdhsa_kernel
	.section	.text._Z30fast_hadamard_transform_kernelI37fast_hadamard_transform_kernel_traitsILi256ELi14EfEEv18HadamardParamsBase,"axG",@progbits,_Z30fast_hadamard_transform_kernelI37fast_hadamard_transform_kernel_traitsILi256ELi14EfEEv18HadamardParamsBase,comdat
.Lfunc_end11:
	.size	_Z30fast_hadamard_transform_kernelI37fast_hadamard_transform_kernel_traitsILi256ELi14EfEEv18HadamardParamsBase, .Lfunc_end11-_Z30fast_hadamard_transform_kernelI37fast_hadamard_transform_kernel_traitsILi256ELi14EfEEv18HadamardParamsBase
                                        ; -- End function
	.section	.AMDGPU.csdata,"",@progbits
; Kernel info:
; codeLenInByte = 16112
; NumSgprs: 32
; NumVgprs: 152
; ScratchSize: 0
; MemoryBound: 0
; FloatMode: 240
; IeeeMode: 1
; LDSByteSize: 0 bytes/workgroup (compile time only)
; SGPRBlocks: 3
; VGPRBlocks: 18
; NumSGPRsForWavesPerEU: 32
; NumVGPRsForWavesPerEU: 152
; Occupancy: 9
; WaveLimiterHint : 0
; COMPUTE_PGM_RSRC2:SCRATCH_EN: 0
; COMPUTE_PGM_RSRC2:USER_SGPR: 15
; COMPUTE_PGM_RSRC2:TRAP_HANDLER: 0
; COMPUTE_PGM_RSRC2:TGID_X_EN: 1
; COMPUTE_PGM_RSRC2:TGID_Y_EN: 0
; COMPUTE_PGM_RSRC2:TGID_Z_EN: 0
; COMPUTE_PGM_RSRC2:TIDIG_COMP_CNT: 0
	.section	.text._Z30fast_hadamard_transform_kernelI37fast_hadamard_transform_kernel_traitsILi256ELi15EfEEv18HadamardParamsBase,"axG",@progbits,_Z30fast_hadamard_transform_kernelI37fast_hadamard_transform_kernel_traitsILi256ELi15EfEEv18HadamardParamsBase,comdat
	.protected	_Z30fast_hadamard_transform_kernelI37fast_hadamard_transform_kernel_traitsILi256ELi15EfEEv18HadamardParamsBase ; -- Begin function _Z30fast_hadamard_transform_kernelI37fast_hadamard_transform_kernel_traitsILi256ELi15EfEEv18HadamardParamsBase
	.globl	_Z30fast_hadamard_transform_kernelI37fast_hadamard_transform_kernel_traitsILi256ELi15EfEEv18HadamardParamsBase
	.p2align	8
	.type	_Z30fast_hadamard_transform_kernelI37fast_hadamard_transform_kernel_traitsILi256ELi15EfEEv18HadamardParamsBase,@function
_Z30fast_hadamard_transform_kernelI37fast_hadamard_transform_kernel_traitsILi256ELi15EfEEv18HadamardParamsBase: ; @_Z30fast_hadamard_transform_kernelI37fast_hadamard_transform_kernel_traitsILi256ELi15EfEEv18HadamardParamsBase
; %bb.0:
	s_clause 0x3
	s_load_b128 s[44:47], s[0:1], 0x10
	s_load_b32 s35, s[0:1], 0x4
	s_load_b128 s[40:43], s[0:1], 0x28
	s_load_b32 s2, s[0:1], 0x44
	s_ashr_i32 s48, s15, 31
	v_lshlrev_b32_e32 v1, 2, v0
	v_dual_mov_b32 v121, 0 :: v_dual_mov_b32 v126, 0
	v_dual_mov_b32 v125, 0 :: v_dual_mov_b32 v128, 0
	v_mov_b32_e32 v127, 0
	v_lshlrev_b32_e32 v157, 4, v0
	s_waitcnt lgkmcnt(0)
	s_mul_hi_u32 s3, s44, s15
	s_mul_i32 s4, s44, s48
	s_mul_i32 s5, s45, s15
	s_add_i32 s3, s3, s4
	s_mul_i32 s4, s44, s15
	s_add_i32 s5, s3, s5
	v_cmp_gt_u32_e64 s33, s35, v1
	s_lshl_b64 s[4:5], s[4:5], 2
	s_delay_alu instid0(SALU_CYCLE_1) | instskip(SKIP_1) | instid1(VALU_DEP_1)
	s_add_u32 s36, s40, s4
	s_addc_u32 s37, s41, s5
	s_and_saveexec_b32 s3, s33
	s_cbranch_execz .LBB12_2
; %bb.1:
	global_load_b128 v[125:128], v157, s[36:37]
.LBB12_2:
	s_or_b32 exec_lo, exec_lo, s3
	s_and_b32 s38, 0xffff, s2
	s_delay_alu instid0(SALU_CYCLE_1) | instskip(SKIP_1) | instid1(VALU_DEP_2)
	v_dual_mov_b32 v122, 0 :: v_dual_add_nc_u32 v1, s38, v0
	v_dual_mov_b32 v123, 0 :: v_dual_mov_b32 v124, 0
	v_lshlrev_b32_e32 v2, 2, v1
	v_lshlrev_b32_e32 v3, 4, v1
	s_delay_alu instid0(VALU_DEP_2)
	v_cmp_gt_u32_e64 s31, s35, v2
	scratch_store_b32 off, v3, off offset:212 ; 4-byte Folded Spill
	s_and_saveexec_b32 s2, s31
	s_cbranch_execz .LBB12_4
; %bb.3:
	v_lshlrev_b32_e32 v2, 4, v1
	global_load_b128 v[121:124], v2, s[36:37]
.LBB12_4:
	s_or_b32 exec_lo, exec_lo, s2
	v_dual_mov_b32 v118, 0 :: v_dual_add_nc_u32 v1, s38, v1
	v_mov_b32_e32 v113, 0
	v_dual_mov_b32 v117, 0 :: v_dual_mov_b32 v120, 0
	s_delay_alu instid0(VALU_DEP_3) | instskip(SKIP_1) | instid1(VALU_DEP_2)
	v_dual_mov_b32 v119, 0 :: v_dual_lshlrev_b32 v2, 2, v1
	v_lshlrev_b32_e32 v3, 4, v1
	v_cmp_gt_u32_e64 s30, s35, v2
	scratch_store_b32 off, v3, off offset:208 ; 4-byte Folded Spill
	s_and_saveexec_b32 s2, s30
	s_cbranch_execz .LBB12_6
; %bb.5:
	v_lshlrev_b32_e32 v2, 4, v1
	global_load_b128 v[117:120], v2, s[36:37]
.LBB12_6:
	s_or_b32 exec_lo, exec_lo, s2
	v_dual_mov_b32 v114, 0 :: v_dual_add_nc_u32 v1, s38, v1
	v_dual_mov_b32 v115, 0 :: v_dual_mov_b32 v116, 0
	s_delay_alu instid0(VALU_DEP_2) | instskip(SKIP_1) | instid1(VALU_DEP_2)
	v_lshlrev_b32_e32 v2, 2, v1
	v_lshlrev_b32_e32 v3, 4, v1
	v_cmp_gt_u32_e64 s29, s35, v2
	scratch_store_b32 off, v3, off offset:204 ; 4-byte Folded Spill
	s_and_saveexec_b32 s2, s29
	s_cbranch_execz .LBB12_8
; %bb.7:
	v_lshlrev_b32_e32 v2, 4, v1
	global_load_b128 v[113:116], v2, s[36:37]
.LBB12_8:
	s_or_b32 exec_lo, exec_lo, s2
	v_dual_mov_b32 v110, 0 :: v_dual_add_nc_u32 v1, s38, v1
	v_mov_b32_e32 v105, 0
	v_dual_mov_b32 v109, 0 :: v_dual_mov_b32 v112, 0
	s_delay_alu instid0(VALU_DEP_3) | instskip(SKIP_1) | instid1(VALU_DEP_2)
	v_dual_mov_b32 v111, 0 :: v_dual_lshlrev_b32 v2, 2, v1
	v_lshlrev_b32_e32 v3, 4, v1
	v_cmp_gt_u32_e64 s28, s35, v2
	scratch_store_b32 off, v3, off offset:200 ; 4-byte Folded Spill
	s_and_saveexec_b32 s2, s28
	s_cbranch_execz .LBB12_10
; %bb.9:
	v_lshlrev_b32_e32 v2, 4, v1
	global_load_b128 v[109:112], v2, s[36:37]
.LBB12_10:
	s_or_b32 exec_lo, exec_lo, s2
	v_dual_mov_b32 v106, 0 :: v_dual_add_nc_u32 v1, s38, v1
	v_dual_mov_b32 v107, 0 :: v_dual_mov_b32 v108, 0
	s_delay_alu instid0(VALU_DEP_2) | instskip(SKIP_1) | instid1(VALU_DEP_2)
	v_lshlrev_b32_e32 v2, 2, v1
	v_lshlrev_b32_e32 v3, 4, v1
	;; [unrolled: 29-line block ×3, first 2 shown]
	v_cmp_gt_u32_e32 vcc_lo, s35, v2
	scratch_store_b32 off, v3, off offset:160 ; 4-byte Folded Spill
	s_and_saveexec_b32 s2, vcc_lo
	s_cbranch_execz .LBB12_16
; %bb.15:
	v_lshlrev_b32_e32 v2, 4, v1
	global_load_b128 v[97:100], v2, s[36:37]
.LBB12_16:
	s_or_b32 exec_lo, exec_lo, s2
	v_dual_mov_b32 v94, 0 :: v_dual_add_nc_u32 v1, s38, v1
	v_mov_b32_e32 v89, 0
	v_dual_mov_b32 v93, 0 :: v_dual_mov_b32 v96, 0
	s_delay_alu instid0(VALU_DEP_3) | instskip(SKIP_1) | instid1(VALU_DEP_2)
	v_dual_mov_b32 v95, 0 :: v_dual_lshlrev_b32 v2, 2, v1
	v_lshlrev_b32_e32 v3, 4, v1
	v_cmp_gt_u32_e64 s7, s35, v2
	scratch_store_b32 off, v3, off offset:164 ; 4-byte Folded Spill
	s_and_saveexec_b32 s2, s7
	s_cbranch_execz .LBB12_18
; %bb.17:
	v_lshlrev_b32_e32 v2, 4, v1
	global_load_b128 v[93:96], v2, s[36:37]
.LBB12_18:
	s_or_b32 exec_lo, exec_lo, s2
	v_dual_mov_b32 v90, 0 :: v_dual_add_nc_u32 v1, s38, v1
	v_dual_mov_b32 v91, 0 :: v_dual_mov_b32 v92, 0
	s_delay_alu instid0(VALU_DEP_2) | instskip(SKIP_1) | instid1(VALU_DEP_2)
	v_lshlrev_b32_e32 v2, 2, v1
	v_lshlrev_b32_e32 v3, 4, v1
	v_cmp_gt_u32_e64 s12, s35, v2
	scratch_store_b32 off, v3, off offset:168 ; 4-byte Folded Spill
	s_and_saveexec_b32 s2, s12
	s_cbranch_execz .LBB12_20
; %bb.19:
	v_lshlrev_b32_e32 v2, 4, v1
	global_load_b128 v[89:92], v2, s[36:37]
.LBB12_20:
	s_or_b32 exec_lo, exec_lo, s2
	v_dual_mov_b32 v86, 0 :: v_dual_add_nc_u32 v1, s38, v1
	v_mov_b32_e32 v81, 0
	v_dual_mov_b32 v85, 0 :: v_dual_mov_b32 v88, 0
	s_delay_alu instid0(VALU_DEP_3) | instskip(SKIP_1) | instid1(VALU_DEP_2)
	v_dual_mov_b32 v87, 0 :: v_dual_lshlrev_b32 v2, 2, v1
	v_lshlrev_b32_e32 v3, 4, v1
	v_cmp_gt_u32_e64 s22, s35, v2
	scratch_store_b32 off, v3, off offset:180 ; 4-byte Folded Spill
	s_and_saveexec_b32 s2, s22
	s_cbranch_execz .LBB12_22
; %bb.21:
	v_lshlrev_b32_e32 v2, 4, v1
	global_load_b128 v[85:88], v2, s[36:37]
.LBB12_22:
	s_or_b32 exec_lo, exec_lo, s2
	v_dual_mov_b32 v82, 0 :: v_dual_add_nc_u32 v1, s38, v1
	v_dual_mov_b32 v83, 0 :: v_dual_mov_b32 v84, 0
	s_delay_alu instid0(VALU_DEP_2) | instskip(SKIP_1) | instid1(VALU_DEP_2)
	v_lshlrev_b32_e32 v2, 2, v1
	v_lshlrev_b32_e32 v3, 4, v1
	v_cmp_gt_u32_e64 s23, s35, v2
	scratch_store_b32 off, v3, off offset:184 ; 4-byte Folded Spill
	s_and_saveexec_b32 s2, s23
	s_cbranch_execz .LBB12_24
; %bb.23:
	v_lshlrev_b32_e32 v2, 4, v1
	global_load_b128 v[81:84], v2, s[36:37]
.LBB12_24:
	s_or_b32 exec_lo, exec_lo, s2
	v_dual_mov_b32 v78, 0 :: v_dual_add_nc_u32 v1, s38, v1
	v_mov_b32_e32 v73, 0
	v_dual_mov_b32 v77, 0 :: v_dual_mov_b32 v80, 0
	s_delay_alu instid0(VALU_DEP_3) | instskip(SKIP_1) | instid1(VALU_DEP_2)
	v_dual_mov_b32 v79, 0 :: v_dual_lshlrev_b32 v2, 2, v1
	v_lshlrev_b32_e32 v3, 4, v1
	v_cmp_gt_u32_e64 s25, s35, v2
	scratch_store_b32 off, v3, off offset:192 ; 4-byte Folded Spill
	s_and_saveexec_b32 s2, s25
	s_cbranch_execz .LBB12_26
; %bb.25:
	v_lshlrev_b32_e32 v2, 4, v1
	global_load_b128 v[77:80], v2, s[36:37]
.LBB12_26:
	s_or_b32 exec_lo, exec_lo, s2
	v_dual_mov_b32 v74, 0 :: v_dual_add_nc_u32 v3, s38, v1
	v_dual_mov_b32 v75, 0 :: v_dual_mov_b32 v76, 0
	s_delay_alu instid0(VALU_DEP_2) | instskip(NEXT) | instid1(VALU_DEP_1)
	v_lshlrev_b32_e32 v1, 2, v3
	v_cmp_gt_u32_e64 s26, s35, v1
	s_delay_alu instid0(VALU_DEP_1)
	s_and_saveexec_b32 s3, s26
	s_cbranch_execz .LBB12_28
; %bb.27:
	v_mov_b32_e32 v4, 0
	s_delay_alu instid0(VALU_DEP_1) | instskip(NEXT) | instid1(VALU_DEP_1)
	v_lshlrev_b64 v[1:2], 4, v[3:4]
	v_add_co_u32 v1, s2, s36, v1
	s_delay_alu instid0(VALU_DEP_1)
	v_add_co_ci_u32_e64 v2, s2, s37, v2, s2
	global_load_b128 v[73:76], v[1:2], off
.LBB12_28:
	s_or_b32 exec_lo, exec_lo, s3
	v_dual_mov_b32 v1, v3 :: v_dual_mov_b32 v70, 0
	v_dual_mov_b32 v72, 0 :: v_dual_add_nc_u32 v3, s38, v3
	v_mov_b32_e32 v65, 0
	scratch_store_b64 off, v[1:2], off offset:172 ; 8-byte Folded Spill
	v_mov_b32_e32 v69, 0
	v_lshlrev_b32_e32 v1, 2, v3
	v_mov_b32_e32 v71, 0
	s_delay_alu instid0(VALU_DEP_2) | instskip(NEXT) | instid1(VALU_DEP_1)
	v_cmp_gt_u32_e64 s19, s35, v1
	s_and_saveexec_b32 s3, s19
	s_cbranch_execz .LBB12_30
; %bb.29:
	v_mov_b32_e32 v4, 0
	s_delay_alu instid0(VALU_DEP_1) | instskip(NEXT) | instid1(VALU_DEP_1)
	v_lshlrev_b64 v[1:2], 4, v[3:4]
	v_add_co_u32 v1, s2, s36, v1
	s_delay_alu instid0(VALU_DEP_1)
	v_add_co_ci_u32_e64 v2, s2, s37, v2, s2
	global_load_b128 v[69:72], v[1:2], off
.LBB12_30:
	s_or_b32 exec_lo, exec_lo, s3
	v_dual_mov_b32 v1, v3 :: v_dual_mov_b32 v66, 0
	v_dual_mov_b32 v68, 0 :: v_dual_add_nc_u32 v3, s38, v3
	v_mov_b32_e32 v67, 0
	scratch_store_b64 off, v[1:2], off offset:152 ; 8-byte Folded Spill
	v_lshlrev_b32_e32 v1, 2, v3
	s_delay_alu instid0(VALU_DEP_1) | instskip(NEXT) | instid1(VALU_DEP_1)
	v_cmp_gt_u32_e64 s2, s35, v1
	s_and_saveexec_b32 s4, s2
	s_cbranch_execz .LBB12_32
; %bb.31:
	v_mov_b32_e32 v4, 0
	s_delay_alu instid0(VALU_DEP_1) | instskip(NEXT) | instid1(VALU_DEP_1)
	v_lshlrev_b64 v[1:2], 4, v[3:4]
	v_add_co_u32 v1, s3, s36, v1
	s_delay_alu instid0(VALU_DEP_1)
	v_add_co_ci_u32_e64 v2, s3, s37, v2, s3
	global_load_b128 v[65:68], v[1:2], off
.LBB12_32:
	s_or_b32 exec_lo, exec_lo, s4
	v_dual_mov_b32 v1, v3 :: v_dual_mov_b32 v62, 0
	v_dual_mov_b32 v64, 0 :: v_dual_add_nc_u32 v3, s38, v3
	v_mov_b32_e32 v57, 0
	scratch_store_b64 off, v[1:2], off offset:32 ; 8-byte Folded Spill
	v_mov_b32_e32 v61, 0
	v_lshlrev_b32_e32 v1, 2, v3
	v_mov_b32_e32 v63, 0
	s_delay_alu instid0(VALU_DEP_2) | instskip(NEXT) | instid1(VALU_DEP_1)
	v_cmp_gt_u32_e64 s3, s35, v1
	s_and_saveexec_b32 s5, s3
	s_cbranch_execz .LBB12_34
; %bb.33:
	v_mov_b32_e32 v4, 0
	s_delay_alu instid0(VALU_DEP_1) | instskip(NEXT) | instid1(VALU_DEP_1)
	v_lshlrev_b64 v[1:2], 4, v[3:4]
	v_add_co_u32 v1, s4, s36, v1
	s_delay_alu instid0(VALU_DEP_1)
	v_add_co_ci_u32_e64 v2, s4, s37, v2, s4
	global_load_b128 v[61:64], v[1:2], off
.LBB12_34:
	s_or_b32 exec_lo, exec_lo, s5
	v_dual_mov_b32 v1, v3 :: v_dual_mov_b32 v58, 0
	v_dual_mov_b32 v60, 0 :: v_dual_add_nc_u32 v3, s38, v3
	v_mov_b32_e32 v59, 0
	scratch_store_b64 off, v[1:2], off offset:24 ; 8-byte Folded Spill
	v_lshlrev_b32_e32 v1, 2, v3
	s_delay_alu instid0(VALU_DEP_1) | instskip(NEXT) | instid1(VALU_DEP_1)
	v_cmp_gt_u32_e64 s4, s35, v1
	;; [unrolled: 40-line block ×8, first 2 shown]
	s_and_saveexec_b32 s21, s18
	s_cbranch_execz .LBB12_60
; %bb.59:
	v_mov_b32_e32 v4, 0
	s_delay_alu instid0(VALU_DEP_1) | instskip(NEXT) | instid1(VALU_DEP_1)
	v_lshlrev_b64 v[1:2], 4, v[3:4]
	v_add_co_u32 v1, s20, s36, v1
	s_delay_alu instid0(VALU_DEP_1)
	v_add_co_ci_u32_e64 v2, s20, s37, v2, s20
	global_load_b128 v[9:12], v[1:2], off
.LBB12_60:
	s_or_b32 exec_lo, exec_lo, s21
	v_dual_mov_b32 v1, v3 :: v_dual_add_nc_u32 v4, s38, v3
	v_dual_mov_b32 v5, 0 :: v_dual_mov_b32 v6, 0
	v_dual_mov_b32 v7, 0 :: v_dual_mov_b32 v8, 0
	scratch_store_b64 off, v[1:2], off offset:144 ; 8-byte Folded Spill
	v_dual_mov_b32 v1, 0 :: v_dual_lshlrev_b32 v2, 2, v4
	s_delay_alu instid0(VALU_DEP_1) | instskip(NEXT) | instid1(VALU_DEP_1)
	v_cmp_gt_u32_e64 s20, s35, v2
	s_and_saveexec_b32 s39, s20
	s_cbranch_execz .LBB12_62
; %bb.61:
	v_mov_b32_e32 v5, 0
	s_delay_alu instid0(VALU_DEP_1) | instskip(NEXT) | instid1(VALU_DEP_1)
	v_lshlrev_b64 v[2:3], 4, v[4:5]
	v_add_co_u32 v2, s21, s36, v2
	s_delay_alu instid0(VALU_DEP_1)
	v_add_co_ci_u32_e64 v3, s21, s37, v3, s21
	global_load_b128 v[5:8], v[2:3], off
.LBB12_62:
	s_or_b32 exec_lo, exec_lo, s39
	v_mov_b32_e32 v2, v4
	scratch_store_b64 off, v[2:3], off offset:136 ; 8-byte Folded Spill
	v_add_nc_u32_e32 v3, s38, v4
	s_delay_alu instid0(VALU_DEP_1)
	v_mov_b32_e32 v2, v3
	v_lshlrev_b32_e32 v4, 2, v3
	scratch_store_b64 off, v[2:3], off      ; 8-byte Folded Spill
	v_dual_mov_b32 v3, 0 :: v_dual_mov_b32 v2, 0
	v_cmp_gt_u32_e64 s21, s35, v4
	v_mov_b32_e32 v4, 0
	s_delay_alu instid0(VALU_DEP_2)
	s_and_saveexec_b32 s38, s21
	s_cbranch_execz .LBB12_64
; %bb.63:
	scratch_load_b64 v[1:2], off, off       ; 8-byte Folded Reload
	s_waitcnt vmcnt(0)
	v_dual_mov_b32 v3, 0 :: v_dual_mov_b32 v2, v1
	scratch_store_b64 off, v[1:2], off      ; 8-byte Folded Spill
	v_lshlrev_b64 v[1:2], 4, v[2:3]
	s_delay_alu instid0(VALU_DEP_1) | instskip(NEXT) | instid1(VALU_DEP_1)
	v_add_co_u32 v1, s35, s36, v1
	v_add_co_ci_u32_e64 v2, s35, s37, v2, s35
	global_load_b128 v[1:4], v[1:2], off
.LBB12_64:
	s_or_b32 exec_lo, exec_lo, s38
	s_waitcnt vmcnt(0)
	v_dual_add_f32 v131, v121, v122 :: v_dual_add_f32 v132, v123, v124
	v_dual_sub_f32 v133, v121, v122 :: v_dual_sub_f32 v134, v123, v124
	v_mbcnt_lo_u32_b32 v121, -1, 0
	v_dual_add_f32 v129, v125, v126 :: v_dual_add_f32 v130, v127, v128
	v_dual_sub_f32 v125, v125, v126 :: v_dual_sub_f32 v126, v127, v128
	s_delay_alu instid0(VALU_DEP_3)
	v_xor_b32_e32 v122, 1, v121
	v_xor_b32_e32 v123, 2, v121
	;; [unrolled: 1-line block ×5, first 2 shown]
	v_cmp_gt_i32_e64 s35, 32, v122
	s_waitcnt_vscnt null, 0x0
	s_barrier
	buffer_gl0_inv
	v_cndmask_b32_e64 v122, v121, v122, s35
	v_cmp_gt_i32_e64 s35, 32, v123
	s_delay_alu instid0(VALU_DEP_2) | instskip(NEXT) | instid1(VALU_DEP_2)
	v_dual_add_f32 v135, v130, v129 :: v_dual_lshlrev_b32 v144, 2, v122
	v_cndmask_b32_e64 v123, v121, v123, s35
	v_cmp_gt_i32_e64 s35, 32, v124
	s_delay_alu instid0(VALU_DEP_2) | instskip(NEXT) | instid1(VALU_DEP_2)
	v_lshlrev_b32_e32 v140, 2, v123
	v_cndmask_b32_e64 v124, v121, v124, s35
	v_cmp_gt_i32_e64 s35, 32, v127
	s_delay_alu instid0(VALU_DEP_2) | instskip(NEXT) | instid1(VALU_DEP_2)
	v_lshlrev_b32_e32 v142, 2, v124
	v_cndmask_b32_e64 v127, v121, v127, s35
	v_cmp_gt_i32_e64 s35, 32, v128
	s_delay_alu instid0(VALU_DEP_1) | instskip(SKIP_1) | instid1(VALU_DEP_1)
	v_cndmask_b32_e64 v128, v121, v128, s35
	v_and_b32_e32 v121, 1, v0
	v_cmp_eq_u32_e64 s37, 0, v121
	ds_bpermute_b32 v121, v144, v135
	v_cndmask_b32_e64 v122, -v135, v135, s37
	s_waitcnt lgkmcnt(0)
	s_delay_alu instid0(VALU_DEP_1) | instskip(SKIP_4) | instid1(VALU_DEP_1)
	v_dual_add_f32 v121, v122, v121 :: v_dual_add_f32 v122, v125, v126
	ds_bpermute_b32 v123, v140, v121
	ds_bpermute_b32 v135, v144, v122
	v_cndmask_b32_e64 v122, -v122, v122, s37
	s_waitcnt lgkmcnt(0)
	v_dual_add_f32 v122, v122, v135 :: v_dual_and_b32 v135, 2, v0
	s_delay_alu instid0(VALU_DEP_1) | instskip(NEXT) | instid1(VALU_DEP_1)
	v_cmp_eq_u32_e64 s35, 0, v135
	v_cndmask_b32_e64 v121, -v121, v121, s35
	s_delay_alu instid0(VALU_DEP_1) | instskip(SKIP_3) | instid1(VALU_DEP_1)
	v_add_f32_e32 v121, v121, v123
	ds_bpermute_b32 v123, v140, v122
	v_cndmask_b32_e64 v122, -v122, v122, s35
	s_waitcnt lgkmcnt(0)
	v_dual_add_f32 v122, v122, v123 :: v_dual_and_b32 v123, 4, v0
	s_delay_alu instid0(VALU_DEP_1) | instskip(SKIP_3) | instid1(VALU_DEP_1)
	v_cmp_eq_u32_e64 s36, 0, v123
	ds_bpermute_b32 v123, v142, v121
	v_cndmask_b32_e64 v121, -v121, v121, s36
	s_waitcnt lgkmcnt(0)
	v_add_f32_e32 v123, v121, v123
	ds_bpermute_b32 v121, v142, v122
	v_cndmask_b32_e64 v122, -v122, v122, s36
	s_waitcnt lgkmcnt(0)
	s_delay_alu instid0(VALU_DEP_1) | instskip(NEXT) | instid1(VALU_DEP_1)
	v_dual_add_f32 v122, v122, v121 :: v_dual_and_b32 v121, 8, v0
	v_cmp_eq_u32_e64 s38, 0, v121
	v_lshlrev_b32_e32 v121, 2, v127
	ds_bpermute_b32 v124, v121, v123
	v_cndmask_b32_e64 v123, -v123, v123, s38
	s_waitcnt lgkmcnt(0)
	s_delay_alu instid0(VALU_DEP_1) | instskip(SKIP_3) | instid1(VALU_DEP_1)
	v_add_f32_e32 v123, v123, v124
	ds_bpermute_b32 v124, v121, v122
	v_cndmask_b32_e64 v122, -v122, v122, s38
	s_waitcnt lgkmcnt(0)
	v_add_f32_e32 v124, v122, v124
	v_and_b32_e32 v122, 16, v0
	s_delay_alu instid0(VALU_DEP_1) | instskip(SKIP_4) | instid1(VALU_DEP_1)
	v_cmp_eq_u32_e64 s39, 0, v122
	v_lshlrev_b32_e32 v122, 2, v128
	ds_bpermute_b32 v127, v122, v123
	v_cndmask_b32_e64 v123, -v123, v123, s39
	s_waitcnt lgkmcnt(0)
	v_add_f32_e32 v127, v123, v127
	v_sub_f32_e32 v123, v129, v130
	ds_bpermute_b32 v128, v122, v124
	v_cndmask_b32_e64 v124, -v124, v124, s39
	s_waitcnt lgkmcnt(0)
	s_delay_alu instid0(VALU_DEP_1) | instskip(SKIP_3) | instid1(VALU_DEP_1)
	v_add_f32_e32 v128, v124, v128
	ds_bpermute_b32 v124, v144, v123
	v_cndmask_b32_e64 v123, -v123, v123, s37
	s_waitcnt lgkmcnt(0)
	v_add_f32_e32 v123, v123, v124
	ds_bpermute_b32 v124, v140, v123
	v_cndmask_b32_e64 v123, -v123, v123, s35
	s_waitcnt lgkmcnt(0)
	s_delay_alu instid0(VALU_DEP_1) | instskip(SKIP_3) | instid1(VALU_DEP_1)
	v_add_f32_e32 v123, v123, v124
	ds_bpermute_b32 v124, v142, v123
	v_cndmask_b32_e64 v123, -v123, v123, s36
	s_waitcnt lgkmcnt(0)
	v_add_f32_e32 v123, v123, v124
	;; [unrolled: 9-line block ×3, first 2 shown]
	v_sub_f32_e32 v123, v125, v126
	ds_bpermute_b32 v124, v144, v123
	v_cndmask_b32_e64 v123, -v123, v123, s37
	s_waitcnt lgkmcnt(0)
	s_delay_alu instid0(VALU_DEP_1) | instskip(SKIP_3) | instid1(VALU_DEP_1)
	v_add_f32_e32 v123, v123, v124
	ds_bpermute_b32 v124, v140, v123
	v_cndmask_b32_e64 v123, -v123, v123, s35
	s_waitcnt lgkmcnt(0)
	v_add_f32_e32 v123, v123, v124
	ds_bpermute_b32 v124, v142, v123
	v_cndmask_b32_e64 v123, -v123, v123, s36
	s_waitcnt lgkmcnt(0)
	s_delay_alu instid0(VALU_DEP_1) | instskip(SKIP_3) | instid1(VALU_DEP_1)
	v_add_f32_e32 v123, v123, v124
	ds_bpermute_b32 v124, v121, v123
	v_cndmask_b32_e64 v123, -v123, v123, s38
	s_waitcnt lgkmcnt(0)
	v_add_f32_e32 v123, v123, v124
	ds_bpermute_b32 v124, v122, v123
	v_cndmask_b32_e64 v123, -v123, v123, s39
	s_waitcnt lgkmcnt(0)
	s_delay_alu instid0(VALU_DEP_1) | instskip(SKIP_3) | instid1(VALU_DEP_1)
	v_dual_add_f32 v130, v123, v124 :: v_dual_add_f32 v123, v132, v131
	ds_bpermute_b32 v124, v144, v123
	v_cndmask_b32_e64 v123, -v123, v123, s37
	s_waitcnt lgkmcnt(0)
	v_dual_add_f32 v123, v123, v124 :: v_dual_add_f32 v124, v133, v134
	ds_bpermute_b32 v125, v144, v124
	v_cndmask_b32_e64 v124, -v124, v124, s37
	s_waitcnt lgkmcnt(0)
	s_delay_alu instid0(VALU_DEP_1) | instskip(SKIP_3) | instid1(VALU_DEP_1)
	v_add_f32_e32 v124, v124, v125
	ds_bpermute_b32 v125, v140, v123
	v_cndmask_b32_e64 v123, -v123, v123, s35
	s_waitcnt lgkmcnt(0)
	v_add_f32_e32 v123, v123, v125
	ds_bpermute_b32 v125, v140, v124
	v_cndmask_b32_e64 v124, -v124, v124, s35
	s_waitcnt lgkmcnt(0)
	s_delay_alu instid0(VALU_DEP_1) | instskip(SKIP_3) | instid1(VALU_DEP_1)
	v_add_f32_e32 v124, v124, v125
	ds_bpermute_b32 v125, v142, v123
	v_cndmask_b32_e64 v123, -v123, v123, s36
	s_waitcnt lgkmcnt(0)
	v_add_f32_e32 v123, v123, v125
	;; [unrolled: 9-line block ×3, first 2 shown]
	ds_bpermute_b32 v125, v121, v124
	v_cndmask_b32_e64 v124, -v124, v124, s38
	s_waitcnt lgkmcnt(0)
	s_delay_alu instid0(VALU_DEP_1)
	v_add_f32_e32 v124, v124, v125
	ds_bpermute_b32 v125, v122, v123
	v_cndmask_b32_e64 v123, -v123, v123, s39
	ds_bpermute_b32 v126, v122, v124
	v_cndmask_b32_e64 v124, -v124, v124, s39
	s_waitcnt lgkmcnt(1)
	v_add_f32_e32 v123, v123, v125
	s_waitcnt lgkmcnt(0)
	s_delay_alu instid0(VALU_DEP_2) | instskip(SKIP_3) | instid1(VALU_DEP_1)
	v_dual_sub_f32 v125, v131, v132 :: v_dual_add_f32 v124, v124, v126
	ds_bpermute_b32 v126, v144, v125
	v_cndmask_b32_e64 v125, -v125, v125, s37
	s_waitcnt lgkmcnt(0)
	v_add_f32_e32 v125, v125, v126
	ds_bpermute_b32 v126, v140, v125
	v_cndmask_b32_e64 v125, -v125, v125, s35
	s_waitcnt lgkmcnt(0)
	s_delay_alu instid0(VALU_DEP_1) | instskip(SKIP_3) | instid1(VALU_DEP_1)
	v_add_f32_e32 v125, v125, v126
	ds_bpermute_b32 v126, v142, v125
	v_cndmask_b32_e64 v125, -v125, v125, s36
	s_waitcnt lgkmcnt(0)
	v_add_f32_e32 v125, v125, v126
	ds_bpermute_b32 v126, v121, v125
	v_cndmask_b32_e64 v125, -v125, v125, s38
	s_waitcnt lgkmcnt(0)
	s_delay_alu instid0(VALU_DEP_1) | instskip(SKIP_3) | instid1(VALU_DEP_1)
	v_add_f32_e32 v125, v125, v126
	ds_bpermute_b32 v126, v122, v125
	v_cndmask_b32_e64 v125, -v125, v125, s39
	s_waitcnt lgkmcnt(0)
	v_add_f32_e32 v125, v125, v126
	v_sub_f32_e32 v126, v133, v134
	ds_bpermute_b32 v131, v144, v126
	v_cndmask_b32_e64 v126, -v126, v126, s37
	s_waitcnt lgkmcnt(0)
	s_delay_alu instid0(VALU_DEP_1) | instskip(SKIP_3) | instid1(VALU_DEP_1)
	v_add_f32_e32 v126, v126, v131
	ds_bpermute_b32 v131, v140, v126
	v_cndmask_b32_e64 v126, -v126, v126, s35
	s_waitcnt lgkmcnt(0)
	v_add_f32_e32 v126, v126, v131
	ds_bpermute_b32 v131, v142, v126
	v_cndmask_b32_e64 v126, -v126, v126, s36
	s_waitcnt lgkmcnt(0)
	s_delay_alu instid0(VALU_DEP_1) | instskip(SKIP_3) | instid1(VALU_DEP_1)
	v_add_f32_e32 v126, v126, v131
	ds_bpermute_b32 v131, v121, v126
	v_cndmask_b32_e64 v126, -v126, v126, s38
	s_waitcnt lgkmcnt(0)
	v_add_f32_e32 v126, v126, v131
	ds_bpermute_b32 v131, v122, v126
	v_cndmask_b32_e64 v126, -v126, v126, s39
	s_waitcnt lgkmcnt(0)
	s_delay_alu instid0(VALU_DEP_1) | instskip(SKIP_1) | instid1(VALU_DEP_1)
	v_add_f32_e32 v126, v126, v131
	v_lshrrev_b32_e32 v131, 5, v0
	v_xor_b32_e32 v131, v131, v0
	s_delay_alu instid0(VALU_DEP_1)
	v_lshl_add_u32 v138, v131, 4, 0
	ds_store_b128 v138, v[127:130]
	ds_store_b128 v138, v[123:126] offset:4096
	v_dual_add_f32 v123, v117, v118 :: v_dual_add_f32 v124, v119, v120
	v_dual_sub_f32 v117, v117, v118 :: v_dual_sub_f32 v118, v119, v120
	v_add_f32_e32 v119, v113, v114
	v_sub_f32_e32 v125, v113, v114
	s_delay_alu instid0(VALU_DEP_4) | instskip(SKIP_4) | instid1(VALU_DEP_1)
	v_dual_add_f32 v113, v124, v123 :: v_dual_add_f32 v120, v115, v116
	v_sub_f32_e32 v126, v115, v116
	ds_bpermute_b32 v114, v144, v113
	v_cndmask_b32_e64 v113, -v113, v113, s37
	s_waitcnt lgkmcnt(0)
	v_add_f32_e32 v113, v113, v114
	v_add_f32_e32 v114, v117, v118
	ds_bpermute_b32 v115, v144, v114
	v_cndmask_b32_e64 v114, -v114, v114, s37
	s_waitcnt lgkmcnt(0)
	s_delay_alu instid0(VALU_DEP_1) | instskip(SKIP_3) | instid1(VALU_DEP_1)
	v_add_f32_e32 v114, v114, v115
	ds_bpermute_b32 v115, v140, v113
	v_cndmask_b32_e64 v113, -v113, v113, s35
	s_waitcnt lgkmcnt(0)
	v_add_f32_e32 v113, v113, v115
	ds_bpermute_b32 v115, v140, v114
	v_cndmask_b32_e64 v114, -v114, v114, s35
	s_waitcnt lgkmcnt(0)
	s_delay_alu instid0(VALU_DEP_1) | instskip(SKIP_3) | instid1(VALU_DEP_1)
	v_add_f32_e32 v114, v114, v115
	ds_bpermute_b32 v115, v142, v113
	v_cndmask_b32_e64 v113, -v113, v113, s36
	s_waitcnt lgkmcnt(0)
	v_add_f32_e32 v113, v113, v115
	ds_bpermute_b32 v115, v142, v114
	v_cndmask_b32_e64 v114, -v114, v114, s36
	s_waitcnt lgkmcnt(0)
	s_delay_alu instid0(VALU_DEP_1) | instskip(SKIP_3) | instid1(VALU_DEP_1)
	v_add_f32_e32 v114, v114, v115
	ds_bpermute_b32 v115, v121, v113
	v_cndmask_b32_e64 v113, -v113, v113, s38
	s_waitcnt lgkmcnt(0)
	v_add_f32_e32 v113, v113, v115
	ds_bpermute_b32 v115, v121, v114
	v_cndmask_b32_e64 v114, -v114, v114, s38
	s_waitcnt lgkmcnt(0)
	s_delay_alu instid0(VALU_DEP_1)
	v_add_f32_e32 v114, v114, v115
	ds_bpermute_b32 v115, v122, v113
	v_cndmask_b32_e64 v113, -v113, v113, s39
	ds_bpermute_b32 v116, v122, v114
	v_cndmask_b32_e64 v114, -v114, v114, s39
	s_waitcnt lgkmcnt(1)
	v_add_f32_e32 v113, v113, v115
	v_sub_f32_e32 v115, v123, v124
	s_waitcnt lgkmcnt(0)
	v_add_f32_e32 v114, v114, v116
	ds_bpermute_b32 v116, v144, v115
	v_cndmask_b32_e64 v115, -v115, v115, s37
	s_waitcnt lgkmcnt(0)
	s_delay_alu instid0(VALU_DEP_1) | instskip(SKIP_3) | instid1(VALU_DEP_1)
	v_add_f32_e32 v115, v115, v116
	ds_bpermute_b32 v116, v140, v115
	v_cndmask_b32_e64 v115, -v115, v115, s35
	s_waitcnt lgkmcnt(0)
	v_add_f32_e32 v115, v115, v116
	ds_bpermute_b32 v116, v142, v115
	v_cndmask_b32_e64 v115, -v115, v115, s36
	s_waitcnt lgkmcnt(0)
	s_delay_alu instid0(VALU_DEP_1) | instskip(SKIP_3) | instid1(VALU_DEP_1)
	v_add_f32_e32 v115, v115, v116
	ds_bpermute_b32 v116, v121, v115
	v_cndmask_b32_e64 v115, -v115, v115, s38
	s_waitcnt lgkmcnt(0)
	v_add_f32_e32 v115, v115, v116
	ds_bpermute_b32 v116, v122, v115
	v_cndmask_b32_e64 v115, -v115, v115, s39
	s_waitcnt lgkmcnt(0)
	s_delay_alu instid0(VALU_DEP_1) | instskip(SKIP_3) | instid1(VALU_DEP_1)
	v_dual_add_f32 v115, v115, v116 :: v_dual_sub_f32 v116, v117, v118
	ds_bpermute_b32 v117, v144, v116
	v_cndmask_b32_e64 v116, -v116, v116, s37
	s_waitcnt lgkmcnt(0)
	v_add_f32_e32 v116, v116, v117
	ds_bpermute_b32 v117, v140, v116
	v_cndmask_b32_e64 v116, -v116, v116, s35
	s_waitcnt lgkmcnt(0)
	s_delay_alu instid0(VALU_DEP_1) | instskip(SKIP_3) | instid1(VALU_DEP_1)
	v_add_f32_e32 v116, v116, v117
	ds_bpermute_b32 v117, v142, v116
	v_cndmask_b32_e64 v116, -v116, v116, s36
	s_waitcnt lgkmcnt(0)
	v_add_f32_e32 v116, v116, v117
	ds_bpermute_b32 v117, v121, v116
	v_cndmask_b32_e64 v116, -v116, v116, s38
	s_waitcnt lgkmcnt(0)
	s_delay_alu instid0(VALU_DEP_1) | instskip(SKIP_3) | instid1(VALU_DEP_1)
	v_add_f32_e32 v116, v116, v117
	ds_bpermute_b32 v117, v122, v116
	v_cndmask_b32_e64 v116, -v116, v116, s39
	s_waitcnt lgkmcnt(0)
	v_add_f32_e32 v116, v116, v117
	v_add_f32_e32 v117, v120, v119
	v_sub_f32_e32 v119, v119, v120
	ds_bpermute_b32 v118, v144, v117
	v_cndmask_b32_e64 v117, -v117, v117, s37
	ds_bpermute_b32 v120, v144, v119
	v_cndmask_b32_e64 v119, -v119, v119, s37
	s_waitcnt lgkmcnt(1)
	v_add_f32_e32 v117, v117, v118
	s_waitcnt lgkmcnt(0)
	s_delay_alu instid0(VALU_DEP_2)
	v_dual_add_f32 v118, v125, v126 :: v_dual_add_f32 v119, v119, v120
	ds_bpermute_b32 v123, v144, v118
	v_cndmask_b32_e64 v118, -v118, v118, s37
	ds_bpermute_b32 v120, v140, v119
	v_cndmask_b32_e64 v119, -v119, v119, s35
	s_waitcnt lgkmcnt(1)
	v_add_f32_e32 v118, v118, v123
	ds_bpermute_b32 v123, v140, v117
	v_cndmask_b32_e64 v117, -v117, v117, s35
	s_waitcnt lgkmcnt(1)
	v_add_f32_e32 v119, v119, v120
	ds_bpermute_b32 v120, v142, v119
	v_cndmask_b32_e64 v119, -v119, v119, s36
	s_waitcnt lgkmcnt(1)
	v_add_f32_e32 v117, v117, v123
	ds_bpermute_b32 v123, v140, v118
	v_cndmask_b32_e64 v118, -v118, v118, s35
	s_waitcnt lgkmcnt(1)
	v_add_f32_e32 v119, v119, v120
	ds_bpermute_b32 v120, v121, v119
	v_cndmask_b32_e64 v119, -v119, v119, s38
	s_waitcnt lgkmcnt(1)
	v_add_f32_e32 v118, v118, v123
	ds_bpermute_b32 v123, v142, v117
	v_cndmask_b32_e64 v117, -v117, v117, s36
	s_waitcnt lgkmcnt(1)
	v_add_f32_e32 v119, v119, v120
	ds_bpermute_b32 v120, v122, v119
	v_cndmask_b32_e64 v119, -v119, v119, s39
	s_waitcnt lgkmcnt(1)
	v_add_f32_e32 v117, v117, v123
	ds_bpermute_b32 v123, v142, v118
	v_cndmask_b32_e64 v118, -v118, v118, s36
	s_waitcnt lgkmcnt(1)
	v_dual_add_f32 v119, v119, v120 :: v_dual_sub_f32 v120, v125, v126
	s_waitcnt lgkmcnt(0)
	s_delay_alu instid0(VALU_DEP_2) | instskip(SKIP_3) | instid1(VALU_DEP_1)
	v_add_f32_e32 v118, v118, v123
	ds_bpermute_b32 v123, v121, v117
	v_cndmask_b32_e64 v117, -v117, v117, s38
	s_waitcnt lgkmcnt(0)
	v_add_f32_e32 v117, v117, v123
	ds_bpermute_b32 v123, v121, v118
	v_cndmask_b32_e64 v118, -v118, v118, s38
	s_waitcnt lgkmcnt(0)
	s_delay_alu instid0(VALU_DEP_1)
	v_add_f32_e32 v118, v118, v123
	ds_bpermute_b32 v123, v122, v117
	v_cndmask_b32_e64 v117, -v117, v117, s39
	ds_bpermute_b32 v124, v122, v118
	v_cndmask_b32_e64 v118, -v118, v118, s39
	s_waitcnt lgkmcnt(1)
	v_add_f32_e32 v117, v117, v123
	ds_bpermute_b32 v123, v144, v120
	v_cndmask_b32_e64 v120, -v120, v120, s37
	s_waitcnt lgkmcnt(1)
	v_add_f32_e32 v118, v118, v124
	s_waitcnt lgkmcnt(0)
	s_delay_alu instid0(VALU_DEP_2) | instskip(SKIP_3) | instid1(VALU_DEP_1)
	v_add_f32_e32 v120, v120, v123
	ds_bpermute_b32 v123, v140, v120
	v_cndmask_b32_e64 v120, -v120, v120, s35
	s_waitcnt lgkmcnt(0)
	v_add_f32_e32 v120, v120, v123
	ds_bpermute_b32 v123, v142, v120
	v_cndmask_b32_e64 v120, -v120, v120, s36
	s_waitcnt lgkmcnt(0)
	s_delay_alu instid0(VALU_DEP_1) | instskip(SKIP_3) | instid1(VALU_DEP_1)
	v_add_f32_e32 v120, v120, v123
	ds_bpermute_b32 v123, v121, v120
	v_cndmask_b32_e64 v120, -v120, v120, s38
	s_waitcnt lgkmcnt(0)
	v_add_f32_e32 v120, v120, v123
	ds_bpermute_b32 v123, v122, v120
	v_cndmask_b32_e64 v120, -v120, v120, s39
	s_waitcnt lgkmcnt(0)
	s_delay_alu instid0(VALU_DEP_1)
	v_add_f32_e32 v120, v120, v123
	ds_store_b128 v138, v[113:116] offset:8192
	ds_store_b128 v138, v[117:120] offset:12288
	v_dual_add_f32 v113, v109, v110 :: v_dual_add_f32 v114, v111, v112
	v_dual_sub_f32 v109, v109, v110 :: v_dual_sub_f32 v110, v111, v112
	v_add_f32_e32 v111, v105, v106
	v_sub_f32_e32 v115, v105, v106
	s_delay_alu instid0(VALU_DEP_4) | instskip(SKIP_4) | instid1(VALU_DEP_1)
	v_dual_add_f32 v105, v114, v113 :: v_dual_add_f32 v112, v107, v108
	v_sub_f32_e32 v116, v107, v108
	ds_bpermute_b32 v106, v144, v105
	v_cndmask_b32_e64 v105, -v105, v105, s37
	s_waitcnt lgkmcnt(0)
	v_add_f32_e32 v105, v105, v106
	v_add_f32_e32 v106, v109, v110
	ds_bpermute_b32 v107, v144, v106
	v_cndmask_b32_e64 v106, -v106, v106, s37
	s_waitcnt lgkmcnt(0)
	s_delay_alu instid0(VALU_DEP_1) | instskip(SKIP_3) | instid1(VALU_DEP_1)
	v_add_f32_e32 v106, v106, v107
	ds_bpermute_b32 v107, v140, v105
	v_cndmask_b32_e64 v105, -v105, v105, s35
	s_waitcnt lgkmcnt(0)
	v_add_f32_e32 v105, v105, v107
	ds_bpermute_b32 v107, v140, v106
	v_cndmask_b32_e64 v106, -v106, v106, s35
	s_waitcnt lgkmcnt(0)
	s_delay_alu instid0(VALU_DEP_1) | instskip(SKIP_3) | instid1(VALU_DEP_1)
	v_add_f32_e32 v106, v106, v107
	ds_bpermute_b32 v107, v142, v105
	v_cndmask_b32_e64 v105, -v105, v105, s36
	s_waitcnt lgkmcnt(0)
	;; [unrolled: 9-line block ×3, first 2 shown]
	v_add_f32_e32 v105, v105, v107
	ds_bpermute_b32 v107, v121, v106
	v_cndmask_b32_e64 v106, -v106, v106, s38
	s_waitcnt lgkmcnt(0)
	s_delay_alu instid0(VALU_DEP_1)
	v_add_f32_e32 v106, v106, v107
	ds_bpermute_b32 v107, v122, v105
	v_cndmask_b32_e64 v105, -v105, v105, s39
	ds_bpermute_b32 v108, v122, v106
	v_cndmask_b32_e64 v106, -v106, v106, s39
	s_waitcnt lgkmcnt(1)
	v_add_f32_e32 v105, v105, v107
	s_waitcnt lgkmcnt(0)
	s_delay_alu instid0(VALU_DEP_2) | instskip(SKIP_3) | instid1(VALU_DEP_1)
	v_dual_sub_f32 v107, v113, v114 :: v_dual_add_f32 v106, v106, v108
	ds_bpermute_b32 v108, v144, v107
	v_cndmask_b32_e64 v107, -v107, v107, s37
	s_waitcnt lgkmcnt(0)
	v_add_f32_e32 v107, v107, v108
	ds_bpermute_b32 v108, v140, v107
	v_cndmask_b32_e64 v107, -v107, v107, s35
	s_waitcnt lgkmcnt(0)
	s_delay_alu instid0(VALU_DEP_1) | instskip(SKIP_3) | instid1(VALU_DEP_1)
	v_add_f32_e32 v107, v107, v108
	ds_bpermute_b32 v108, v142, v107
	v_cndmask_b32_e64 v107, -v107, v107, s36
	s_waitcnt lgkmcnt(0)
	v_add_f32_e32 v107, v107, v108
	ds_bpermute_b32 v108, v121, v107
	v_cndmask_b32_e64 v107, -v107, v107, s38
	s_waitcnt lgkmcnt(0)
	s_delay_alu instid0(VALU_DEP_1) | instskip(SKIP_3) | instid1(VALU_DEP_1)
	v_add_f32_e32 v107, v107, v108
	ds_bpermute_b32 v108, v122, v107
	v_cndmask_b32_e64 v107, -v107, v107, s39
	s_waitcnt lgkmcnt(0)
	v_dual_add_f32 v107, v107, v108 :: v_dual_sub_f32 v108, v109, v110
	ds_bpermute_b32 v109, v144, v108
	v_cndmask_b32_e64 v108, -v108, v108, s37
	s_waitcnt lgkmcnt(0)
	s_delay_alu instid0(VALU_DEP_1) | instskip(SKIP_3) | instid1(VALU_DEP_1)
	v_add_f32_e32 v108, v108, v109
	ds_bpermute_b32 v109, v140, v108
	v_cndmask_b32_e64 v108, -v108, v108, s35
	s_waitcnt lgkmcnt(0)
	v_add_f32_e32 v108, v108, v109
	ds_bpermute_b32 v109, v142, v108
	v_cndmask_b32_e64 v108, -v108, v108, s36
	s_waitcnt lgkmcnt(0)
	s_delay_alu instid0(VALU_DEP_1) | instskip(SKIP_3) | instid1(VALU_DEP_1)
	v_add_f32_e32 v108, v108, v109
	ds_bpermute_b32 v109, v121, v108
	v_cndmask_b32_e64 v108, -v108, v108, s38
	s_waitcnt lgkmcnt(0)
	v_add_f32_e32 v108, v108, v109
	ds_bpermute_b32 v109, v122, v108
	v_cndmask_b32_e64 v108, -v108, v108, s39
	s_waitcnt lgkmcnt(0)
	s_delay_alu instid0(VALU_DEP_1)
	v_add_f32_e32 v108, v108, v109
	v_add_f32_e32 v109, v112, v111
	v_sub_f32_e32 v111, v111, v112
	ds_bpermute_b32 v112, v144, v111
	v_cndmask_b32_e64 v111, -v111, v111, s37
	s_waitcnt lgkmcnt(0)
	s_delay_alu instid0(VALU_DEP_1) | instskip(SKIP_3) | instid1(VALU_DEP_1)
	v_add_f32_e32 v111, v111, v112
	ds_bpermute_b32 v112, v140, v111
	v_cndmask_b32_e64 v111, -v111, v111, s35
	s_waitcnt lgkmcnt(0)
	v_add_f32_e32 v111, v111, v112
	ds_bpermute_b32 v112, v142, v111
	v_cndmask_b32_e64 v111, -v111, v111, s36
	s_waitcnt lgkmcnt(0)
	s_delay_alu instid0(VALU_DEP_1) | instskip(SKIP_3) | instid1(VALU_DEP_1)
	v_add_f32_e32 v111, v111, v112
	ds_bpermute_b32 v112, v121, v111
	v_cndmask_b32_e64 v111, -v111, v111, s38
	s_waitcnt lgkmcnt(0)
	v_add_f32_e32 v111, v111, v112
	ds_bpermute_b32 v112, v122, v111
	v_cndmask_b32_e64 v111, -v111, v111, s39
	s_waitcnt lgkmcnt(0)
	s_delay_alu instid0(VALU_DEP_1) | instskip(SKIP_4) | instid1(VALU_DEP_1)
	v_add_f32_e32 v111, v111, v112
	v_sub_f32_e32 v112, v115, v116
	ds_bpermute_b32 v110, v144, v109
	v_cndmask_b32_e64 v109, -v109, v109, s37
	s_waitcnt lgkmcnt(0)
	v_dual_add_f32 v109, v109, v110 :: v_dual_add_f32 v110, v115, v116
	ds_bpermute_b32 v113, v144, v110
	v_cndmask_b32_e64 v110, -v110, v110, s37
	s_waitcnt lgkmcnt(0)
	s_delay_alu instid0(VALU_DEP_1) | instskip(SKIP_3) | instid1(VALU_DEP_1)
	v_add_f32_e32 v110, v110, v113
	ds_bpermute_b32 v113, v140, v109
	v_cndmask_b32_e64 v109, -v109, v109, s35
	s_waitcnt lgkmcnt(0)
	v_add_f32_e32 v109, v109, v113
	ds_bpermute_b32 v113, v140, v110
	v_cndmask_b32_e64 v110, -v110, v110, s35
	s_waitcnt lgkmcnt(0)
	s_delay_alu instid0(VALU_DEP_1) | instskip(SKIP_3) | instid1(VALU_DEP_1)
	v_add_f32_e32 v110, v110, v113
	ds_bpermute_b32 v113, v142, v109
	v_cndmask_b32_e64 v109, -v109, v109, s36
	s_waitcnt lgkmcnt(0)
	v_add_f32_e32 v109, v109, v113
	;; [unrolled: 9-line block ×3, first 2 shown]
	ds_bpermute_b32 v113, v121, v110
	v_cndmask_b32_e64 v110, -v110, v110, s38
	s_waitcnt lgkmcnt(0)
	s_delay_alu instid0(VALU_DEP_1)
	v_add_f32_e32 v110, v110, v113
	ds_bpermute_b32 v113, v122, v109
	v_cndmask_b32_e64 v109, -v109, v109, s39
	ds_bpermute_b32 v114, v122, v110
	v_cndmask_b32_e64 v110, -v110, v110, s39
	s_waitcnt lgkmcnt(1)
	v_add_f32_e32 v109, v109, v113
	ds_bpermute_b32 v113, v144, v112
	v_cndmask_b32_e64 v112, -v112, v112, s37
	s_waitcnt lgkmcnt(1)
	v_add_f32_e32 v110, v110, v114
	s_waitcnt lgkmcnt(0)
	s_delay_alu instid0(VALU_DEP_2) | instskip(SKIP_3) | instid1(VALU_DEP_1)
	v_add_f32_e32 v112, v112, v113
	ds_bpermute_b32 v113, v140, v112
	v_cndmask_b32_e64 v112, -v112, v112, s35
	s_waitcnt lgkmcnt(0)
	v_add_f32_e32 v112, v112, v113
	ds_bpermute_b32 v113, v142, v112
	v_cndmask_b32_e64 v112, -v112, v112, s36
	s_waitcnt lgkmcnt(0)
	s_delay_alu instid0(VALU_DEP_1) | instskip(SKIP_3) | instid1(VALU_DEP_1)
	v_add_f32_e32 v112, v112, v113
	ds_bpermute_b32 v113, v121, v112
	v_cndmask_b32_e64 v112, -v112, v112, s38
	s_waitcnt lgkmcnt(0)
	v_add_f32_e32 v112, v112, v113
	ds_bpermute_b32 v113, v122, v112
	v_cndmask_b32_e64 v112, -v112, v112, s39
	s_waitcnt lgkmcnt(0)
	s_delay_alu instid0(VALU_DEP_1)
	v_add_f32_e32 v112, v112, v113
	ds_store_b128 v138, v[105:108] offset:16384
	ds_store_b128 v138, v[109:112] offset:20480
	v_dual_sub_f32 v108, v99, v100 :: v_dual_add_f32 v105, v101, v102
	v_dual_add_f32 v106, v103, v104 :: v_dual_sub_f32 v107, v97, v98
	v_dual_sub_f32 v101, v101, v102 :: v_dual_sub_f32 v102, v103, v104
	v_add_f32_e32 v103, v97, v98
	s_delay_alu instid0(VALU_DEP_3) | instskip(SKIP_3) | instid1(VALU_DEP_1)
	v_dual_add_f32 v97, v106, v105 :: v_dual_add_f32 v104, v99, v100
	ds_bpermute_b32 v98, v144, v97
	v_cndmask_b32_e64 v97, -v97, v97, s37
	s_waitcnt lgkmcnt(0)
	v_add_f32_e32 v97, v97, v98
	v_add_f32_e32 v98, v101, v102
	ds_bpermute_b32 v99, v144, v98
	v_cndmask_b32_e64 v98, -v98, v98, s37
	s_waitcnt lgkmcnt(0)
	s_delay_alu instid0(VALU_DEP_1) | instskip(SKIP_3) | instid1(VALU_DEP_1)
	v_add_f32_e32 v98, v98, v99
	ds_bpermute_b32 v99, v140, v97
	v_cndmask_b32_e64 v97, -v97, v97, s35
	s_waitcnt lgkmcnt(0)
	v_add_f32_e32 v97, v97, v99
	ds_bpermute_b32 v99, v140, v98
	v_cndmask_b32_e64 v98, -v98, v98, s35
	s_waitcnt lgkmcnt(0)
	s_delay_alu instid0(VALU_DEP_1) | instskip(SKIP_3) | instid1(VALU_DEP_1)
	v_add_f32_e32 v98, v98, v99
	ds_bpermute_b32 v99, v142, v97
	v_cndmask_b32_e64 v97, -v97, v97, s36
	s_waitcnt lgkmcnt(0)
	;; [unrolled: 9-line block ×3, first 2 shown]
	v_add_f32_e32 v97, v97, v99
	ds_bpermute_b32 v99, v121, v98
	v_cndmask_b32_e64 v98, -v98, v98, s38
	s_waitcnt lgkmcnt(0)
	s_delay_alu instid0(VALU_DEP_1)
	v_add_f32_e32 v98, v98, v99
	ds_bpermute_b32 v99, v122, v97
	v_cndmask_b32_e64 v97, -v97, v97, s39
	ds_bpermute_b32 v100, v122, v98
	v_cndmask_b32_e64 v98, -v98, v98, s39
	s_waitcnt lgkmcnt(0)
	s_delay_alu instid0(VALU_DEP_1) | instskip(SKIP_4) | instid1(VALU_DEP_1)
	v_dual_add_f32 v97, v97, v99 :: v_dual_add_f32 v98, v98, v100
	v_sub_f32_e32 v99, v105, v106
	ds_bpermute_b32 v100, v144, v99
	v_cndmask_b32_e64 v99, -v99, v99, s37
	s_waitcnt lgkmcnt(0)
	v_add_f32_e32 v99, v99, v100
	ds_bpermute_b32 v100, v140, v99
	v_cndmask_b32_e64 v99, -v99, v99, s35
	s_waitcnt lgkmcnt(0)
	s_delay_alu instid0(VALU_DEP_1) | instskip(SKIP_3) | instid1(VALU_DEP_1)
	v_add_f32_e32 v99, v99, v100
	ds_bpermute_b32 v100, v142, v99
	v_cndmask_b32_e64 v99, -v99, v99, s36
	s_waitcnt lgkmcnt(0)
	v_add_f32_e32 v99, v99, v100
	ds_bpermute_b32 v100, v121, v99
	v_cndmask_b32_e64 v99, -v99, v99, s38
	s_waitcnt lgkmcnt(0)
	s_delay_alu instid0(VALU_DEP_1) | instskip(SKIP_3) | instid1(VALU_DEP_1)
	v_add_f32_e32 v99, v99, v100
	ds_bpermute_b32 v100, v122, v99
	v_cndmask_b32_e64 v99, -v99, v99, s39
	s_waitcnt lgkmcnt(0)
	v_dual_add_f32 v99, v99, v100 :: v_dual_sub_f32 v100, v101, v102
	ds_bpermute_b32 v101, v144, v100
	v_cndmask_b32_e64 v100, -v100, v100, s37
	s_waitcnt lgkmcnt(0)
	s_delay_alu instid0(VALU_DEP_1) | instskip(SKIP_3) | instid1(VALU_DEP_1)
	v_add_f32_e32 v100, v100, v101
	ds_bpermute_b32 v101, v140, v100
	v_cndmask_b32_e64 v100, -v100, v100, s35
	s_waitcnt lgkmcnt(0)
	v_add_f32_e32 v100, v100, v101
	ds_bpermute_b32 v101, v142, v100
	v_cndmask_b32_e64 v100, -v100, v100, s36
	s_waitcnt lgkmcnt(0)
	s_delay_alu instid0(VALU_DEP_1) | instskip(SKIP_3) | instid1(VALU_DEP_1)
	v_add_f32_e32 v100, v100, v101
	ds_bpermute_b32 v101, v121, v100
	v_cndmask_b32_e64 v100, -v100, v100, s38
	s_waitcnt lgkmcnt(0)
	v_add_f32_e32 v100, v100, v101
	ds_bpermute_b32 v101, v122, v100
	v_cndmask_b32_e64 v100, -v100, v100, s39
	s_waitcnt lgkmcnt(0)
	s_delay_alu instid0(VALU_DEP_1)
	v_add_f32_e32 v100, v100, v101
	v_add_f32_e32 v101, v104, v103
	v_sub_f32_e32 v103, v103, v104
	ds_bpermute_b32 v102, v144, v101
	v_cndmask_b32_e64 v101, -v101, v101, s37
	ds_bpermute_b32 v104, v144, v103
	v_cndmask_b32_e64 v103, -v103, v103, s37
	s_waitcnt lgkmcnt(1)
	v_dual_add_f32 v101, v101, v102 :: v_dual_add_f32 v102, v107, v108
	s_waitcnt lgkmcnt(0)
	s_delay_alu instid0(VALU_DEP_2)
	v_add_f32_e32 v103, v103, v104
	ds_bpermute_b32 v105, v144, v102
	v_cndmask_b32_e64 v102, -v102, v102, s37
	ds_bpermute_b32 v104, v140, v103
	v_cndmask_b32_e64 v103, -v103, v103, s35
	s_waitcnt lgkmcnt(1)
	v_add_f32_e32 v102, v102, v105
	ds_bpermute_b32 v105, v140, v101
	v_cndmask_b32_e64 v101, -v101, v101, s35
	s_waitcnt lgkmcnt(1)
	v_add_f32_e32 v103, v103, v104
	ds_bpermute_b32 v104, v142, v103
	v_cndmask_b32_e64 v103, -v103, v103, s36
	s_waitcnt lgkmcnt(1)
	v_add_f32_e32 v101, v101, v105
	ds_bpermute_b32 v105, v140, v102
	v_cndmask_b32_e64 v102, -v102, v102, s35
	s_waitcnt lgkmcnt(1)
	v_add_f32_e32 v103, v103, v104
	ds_bpermute_b32 v104, v121, v103
	v_cndmask_b32_e64 v103, -v103, v103, s38
	s_waitcnt lgkmcnt(1)
	v_add_f32_e32 v102, v102, v105
	ds_bpermute_b32 v105, v142, v101
	v_cndmask_b32_e64 v101, -v101, v101, s36
	s_waitcnt lgkmcnt(1)
	v_add_f32_e32 v103, v103, v104
	ds_bpermute_b32 v104, v122, v103
	v_cndmask_b32_e64 v103, -v103, v103, s39
	s_waitcnt lgkmcnt(1)
	v_add_f32_e32 v101, v101, v105
	ds_bpermute_b32 v105, v142, v102
	v_cndmask_b32_e64 v102, -v102, v102, s36
	s_waitcnt lgkmcnt(1)
	v_add_f32_e32 v103, v103, v104
	v_sub_f32_e32 v104, v107, v108
	s_waitcnt lgkmcnt(0)
	v_add_f32_e32 v102, v102, v105
	ds_bpermute_b32 v105, v121, v101
	v_cndmask_b32_e64 v101, -v101, v101, s38
	s_waitcnt lgkmcnt(0)
	s_delay_alu instid0(VALU_DEP_1) | instskip(SKIP_3) | instid1(VALU_DEP_1)
	v_add_f32_e32 v101, v101, v105
	ds_bpermute_b32 v105, v121, v102
	v_cndmask_b32_e64 v102, -v102, v102, s38
	s_waitcnt lgkmcnt(0)
	v_add_f32_e32 v102, v102, v105
	ds_bpermute_b32 v105, v122, v101
	v_cndmask_b32_e64 v101, -v101, v101, s39
	ds_bpermute_b32 v106, v122, v102
	v_cndmask_b32_e64 v102, -v102, v102, s39
	s_waitcnt lgkmcnt(1)
	v_add_f32_e32 v101, v101, v105
	ds_bpermute_b32 v105, v144, v104
	v_cndmask_b32_e64 v104, -v104, v104, s37
	s_waitcnt lgkmcnt(1)
	v_add_f32_e32 v102, v102, v106
	s_waitcnt lgkmcnt(0)
	s_delay_alu instid0(VALU_DEP_2) | instskip(SKIP_3) | instid1(VALU_DEP_1)
	v_add_f32_e32 v104, v104, v105
	ds_bpermute_b32 v105, v140, v104
	v_cndmask_b32_e64 v104, -v104, v104, s35
	s_waitcnt lgkmcnt(0)
	v_add_f32_e32 v104, v104, v105
	ds_bpermute_b32 v105, v142, v104
	v_cndmask_b32_e64 v104, -v104, v104, s36
	s_waitcnt lgkmcnt(0)
	s_delay_alu instid0(VALU_DEP_1) | instskip(SKIP_3) | instid1(VALU_DEP_1)
	v_add_f32_e32 v104, v104, v105
	ds_bpermute_b32 v105, v121, v104
	v_cndmask_b32_e64 v104, -v104, v104, s38
	s_waitcnt lgkmcnt(0)
	v_add_f32_e32 v104, v104, v105
	ds_bpermute_b32 v105, v122, v104
	v_cndmask_b32_e64 v104, -v104, v104, s39
	s_waitcnt lgkmcnt(0)
	s_delay_alu instid0(VALU_DEP_1)
	v_add_f32_e32 v104, v104, v105
	ds_store_b128 v138, v[97:100] offset:24576
	ds_store_b128 v138, v[101:104] offset:28672
	v_dual_add_f32 v97, v93, v94 :: v_dual_add_f32 v98, v95, v96
	v_dual_sub_f32 v93, v93, v94 :: v_dual_sub_f32 v94, v95, v96
	v_dual_add_f32 v95, v89, v90 :: v_dual_add_f32 v96, v91, v92
	v_dual_sub_f32 v89, v89, v90 :: v_dual_sub_f32 v90, v91, v92
	s_delay_alu instid0(VALU_DEP_4)
	v_add_f32_e32 v91, v98, v97
	s_waitcnt lgkmcnt(0)
	s_barrier
	buffer_gl0_inv
	ds_bpermute_b32 v92, v144, v91
	v_cndmask_b32_e64 v91, -v91, v91, s37
	s_waitcnt lgkmcnt(0)
	s_delay_alu instid0(VALU_DEP_1) | instskip(SKIP_3) | instid1(VALU_DEP_1)
	v_dual_add_f32 v91, v91, v92 :: v_dual_add_f32 v92, v93, v94
	ds_bpermute_b32 v99, v144, v92
	v_cndmask_b32_e64 v92, -v92, v92, s37
	s_waitcnt lgkmcnt(0)
	v_add_f32_e32 v92, v92, v99
	ds_bpermute_b32 v99, v140, v91
	v_cndmask_b32_e64 v91, -v91, v91, s35
	s_waitcnt lgkmcnt(0)
	s_delay_alu instid0(VALU_DEP_1) | instskip(SKIP_3) | instid1(VALU_DEP_1)
	v_add_f32_e32 v91, v91, v99
	ds_bpermute_b32 v99, v140, v92
	v_cndmask_b32_e64 v92, -v92, v92, s35
	s_waitcnt lgkmcnt(0)
	v_add_f32_e32 v92, v92, v99
	ds_bpermute_b32 v99, v142, v91
	v_cndmask_b32_e64 v91, -v91, v91, s36
	s_waitcnt lgkmcnt(0)
	s_delay_alu instid0(VALU_DEP_1) | instskip(SKIP_3) | instid1(VALU_DEP_1)
	v_add_f32_e32 v91, v91, v99
	;; [unrolled: 9-line block ×3, first 2 shown]
	ds_bpermute_b32 v99, v121, v92
	v_cndmask_b32_e64 v92, -v92, v92, s38
	s_waitcnt lgkmcnt(0)
	v_add_f32_e32 v92, v92, v99
	ds_bpermute_b32 v99, v122, v91
	v_cndmask_b32_e64 v91, -v91, v91, s39
	ds_bpermute_b32 v100, v122, v92
	v_cndmask_b32_e64 v92, -v92, v92, s39
	s_waitcnt lgkmcnt(0)
	s_delay_alu instid0(VALU_DEP_1) | instskip(SKIP_4) | instid1(VALU_DEP_1)
	v_dual_add_f32 v123, v91, v99 :: v_dual_add_f32 v124, v92, v100
	v_sub_f32_e32 v91, v97, v98
	ds_bpermute_b32 v92, v144, v91
	v_cndmask_b32_e64 v91, -v91, v91, s37
	s_waitcnt lgkmcnt(0)
	v_add_f32_e32 v91, v91, v92
	ds_bpermute_b32 v92, v140, v91
	v_cndmask_b32_e64 v91, -v91, v91, s35
	s_waitcnt lgkmcnt(0)
	s_delay_alu instid0(VALU_DEP_1) | instskip(SKIP_3) | instid1(VALU_DEP_1)
	v_add_f32_e32 v91, v91, v92
	ds_bpermute_b32 v92, v142, v91
	v_cndmask_b32_e64 v91, -v91, v91, s36
	s_waitcnt lgkmcnt(0)
	v_add_f32_e32 v91, v91, v92
	ds_bpermute_b32 v92, v121, v91
	v_cndmask_b32_e64 v91, -v91, v91, s38
	s_waitcnt lgkmcnt(0)
	s_delay_alu instid0(VALU_DEP_1) | instskip(SKIP_3) | instid1(VALU_DEP_1)
	v_add_f32_e32 v91, v91, v92
	ds_bpermute_b32 v92, v122, v91
	v_cndmask_b32_e64 v91, -v91, v91, s39
	s_waitcnt lgkmcnt(0)
	v_add_f32_e32 v125, v91, v92
	v_sub_f32_e32 v91, v93, v94
	ds_bpermute_b32 v92, v144, v91
	v_cndmask_b32_e64 v91, -v91, v91, s37
	s_waitcnt lgkmcnt(0)
	s_delay_alu instid0(VALU_DEP_1) | instskip(SKIP_3) | instid1(VALU_DEP_1)
	v_add_f32_e32 v91, v91, v92
	ds_bpermute_b32 v92, v140, v91
	v_cndmask_b32_e64 v91, -v91, v91, s35
	s_waitcnt lgkmcnt(0)
	v_add_f32_e32 v91, v91, v92
	ds_bpermute_b32 v92, v142, v91
	v_cndmask_b32_e64 v91, -v91, v91, s36
	s_waitcnt lgkmcnt(0)
	s_delay_alu instid0(VALU_DEP_1) | instskip(SKIP_3) | instid1(VALU_DEP_1)
	v_add_f32_e32 v91, v91, v92
	ds_bpermute_b32 v92, v121, v91
	v_cndmask_b32_e64 v91, -v91, v91, s38
	s_waitcnt lgkmcnt(0)
	v_add_f32_e32 v91, v91, v92
	ds_bpermute_b32 v92, v122, v91
	v_cndmask_b32_e64 v91, -v91, v91, s39
	s_waitcnt lgkmcnt(0)
	s_delay_alu instid0(VALU_DEP_1) | instskip(SKIP_3) | instid1(VALU_DEP_1)
	v_dual_add_f32 v126, v91, v92 :: v_dual_add_f32 v91, v96, v95
	ds_bpermute_b32 v92, v144, v91
	v_cndmask_b32_e64 v91, -v91, v91, s37
	s_waitcnt lgkmcnt(0)
	v_dual_add_f32 v91, v91, v92 :: v_dual_add_f32 v92, v89, v90
	ds_bpermute_b32 v93, v144, v92
	v_cndmask_b32_e64 v92, -v92, v92, s37
	s_waitcnt lgkmcnt(0)
	s_delay_alu instid0(VALU_DEP_1) | instskip(SKIP_3) | instid1(VALU_DEP_1)
	v_add_f32_e32 v92, v92, v93
	ds_bpermute_b32 v93, v140, v91
	v_cndmask_b32_e64 v91, -v91, v91, s35
	s_waitcnt lgkmcnt(0)
	v_add_f32_e32 v91, v91, v93
	ds_bpermute_b32 v93, v140, v92
	v_cndmask_b32_e64 v92, -v92, v92, s35
	s_waitcnt lgkmcnt(0)
	s_delay_alu instid0(VALU_DEP_1)
	v_add_f32_e32 v92, v92, v93
	ds_bpermute_b32 v93, v142, v91
	v_cndmask_b32_e64 v91, -v91, v91, s36
	v_sub_f32_e32 v89, v89, v90
	ds_bpermute_b32 v90, v144, v89
	v_cndmask_b32_e64 v89, -v89, v89, s37
	s_waitcnt lgkmcnt(1)
	v_add_f32_e32 v91, v91, v93
	ds_bpermute_b32 v93, v142, v92
	v_cndmask_b32_e64 v92, -v92, v92, s36
	s_waitcnt lgkmcnt(1)
	v_add_f32_e32 v89, v89, v90
	;; [unrolled: 4-line block ×6, first 2 shown]
	ds_bpermute_b32 v90, v121, v89
	s_waitcnt lgkmcnt(1)
	v_add_f32_e32 v92, v92, v93
	ds_bpermute_b32 v93, v122, v91
	v_cndmask_b32_e64 v91, -v91, v91, s39
	v_cndmask_b32_e64 v89, -v89, v89, s38
	ds_bpermute_b32 v94, v122, v92
	v_cndmask_b32_e64 v92, -v92, v92, s39
	s_waitcnt lgkmcnt(2)
	v_add_f32_e32 v89, v89, v90
	s_waitcnt lgkmcnt(1)
	v_add_f32_e32 v127, v91, v93
	v_sub_f32_e32 v91, v95, v96
	ds_bpermute_b32 v90, v122, v89
	s_waitcnt lgkmcnt(1)
	v_add_f32_e32 v128, v92, v94
	v_cndmask_b32_e64 v89, -v89, v89, s39
	ds_bpermute_b32 v92, v144, v91
	v_cndmask_b32_e64 v91, -v91, v91, s37
	s_waitcnt lgkmcnt(1)
	v_dual_add_f32 v130, v89, v90 :: v_dual_and_b32 v89, 7, v0
	v_lshrrev_b32_e32 v0, 3, v0
	s_waitcnt lgkmcnt(0)
	v_add_f32_e32 v91, v91, v92
	s_delay_alu instid0(VALU_DEP_2) | instskip(SKIP_3) | instid1(VALU_DEP_1)
	v_lshl_or_b32 v0, v89, 5, v0
	ds_bpermute_b32 v92, v140, v91
	v_cndmask_b32_e64 v91, -v91, v91, s35
	v_xor_b32_e32 v0, v0, v89
	v_lshl_add_u32 v146, v0, 4, 0
	s_waitcnt lgkmcnt(0)
	s_delay_alu instid0(VALU_DEP_3) | instskip(SKIP_3) | instid1(VALU_DEP_1)
	v_dual_add_f32 v0, v85, v86 :: v_dual_add_f32 v91, v91, v92
	ds_bpermute_b32 v92, v142, v91
	v_cndmask_b32_e64 v91, -v91, v91, s36
	s_waitcnt lgkmcnt(0)
	v_add_f32_e32 v91, v91, v92
	ds_bpermute_b32 v92, v121, v91
	v_cndmask_b32_e64 v91, -v91, v91, s38
	s_waitcnt lgkmcnt(0)
	s_delay_alu instid0(VALU_DEP_1) | instskip(SKIP_3) | instid1(VALU_DEP_1)
	v_add_f32_e32 v91, v91, v92
	ds_bpermute_b32 v92, v122, v91
	v_cndmask_b32_e64 v91, -v91, v91, s39
	s_waitcnt lgkmcnt(0)
	v_add_f32_e32 v129, v91, v92
	ds_load_b128 v[117:120], v146
	ds_load_b128 v[113:116], v146 offset:4096
	ds_load_b128 v[109:112], v146 offset:8192
	;; [unrolled: 1-line block ×7, first 2 shown]
	s_waitcnt lgkmcnt(0)
	s_barrier
	buffer_gl0_inv
	ds_store_b128 v138, v[123:126]
	ds_store_b128 v138, v[127:130] offset:4096
	v_dual_add_f32 v123, v87, v88 :: v_dual_sub_f32 v124, v81, v82
	v_sub_f32_e32 v125, v83, v84
	v_dual_sub_f32 v85, v85, v86 :: v_dual_sub_f32 v86, v87, v88
	v_add_f32_e32 v87, v81, v82
	s_delay_alu instid0(VALU_DEP_4)
	v_add_f32_e32 v81, v123, v0
	v_add_f32_e32 v88, v83, v84
	v_sub_f32_e32 v0, v0, v123
	ds_bpermute_b32 v82, v144, v81
	v_cndmask_b32_e64 v81, -v81, v81, s37
	s_waitcnt lgkmcnt(0)
	s_delay_alu instid0(VALU_DEP_1) | instskip(SKIP_4) | instid1(VALU_DEP_1)
	v_add_f32_e32 v81, v81, v82
	v_add_f32_e32 v82, v85, v86
	ds_bpermute_b32 v83, v144, v82
	v_cndmask_b32_e64 v82, -v82, v82, s37
	s_waitcnt lgkmcnt(0)
	v_add_f32_e32 v82, v82, v83
	ds_bpermute_b32 v83, v140, v81
	v_cndmask_b32_e64 v81, -v81, v81, s35
	s_waitcnt lgkmcnt(0)
	s_delay_alu instid0(VALU_DEP_1) | instskip(SKIP_3) | instid1(VALU_DEP_1)
	v_add_f32_e32 v81, v81, v83
	ds_bpermute_b32 v83, v140, v82
	v_cndmask_b32_e64 v82, -v82, v82, s35
	s_waitcnt lgkmcnt(0)
	v_add_f32_e32 v82, v82, v83
	ds_bpermute_b32 v83, v142, v81
	v_cndmask_b32_e64 v81, -v81, v81, s36
	s_waitcnt lgkmcnt(0)
	s_delay_alu instid0(VALU_DEP_1) | instskip(SKIP_3) | instid1(VALU_DEP_1)
	;; [unrolled: 9-line block ×3, first 2 shown]
	v_add_f32_e32 v81, v81, v83
	ds_bpermute_b32 v83, v121, v82
	v_cndmask_b32_e64 v82, -v82, v82, s38
	s_waitcnt lgkmcnt(0)
	v_add_f32_e32 v82, v82, v83
	ds_bpermute_b32 v83, v122, v81
	v_cndmask_b32_e64 v81, -v81, v81, s39
	ds_bpermute_b32 v84, v122, v82
	v_cndmask_b32_e64 v82, -v82, v82, s39
	s_waitcnt lgkmcnt(1)
	v_add_f32_e32 v81, v81, v83
	ds_bpermute_b32 v83, v144, v0
	v_cndmask_b32_e64 v0, -v0, v0, s37
	s_waitcnt lgkmcnt(1)
	v_add_f32_e32 v82, v82, v84
	s_waitcnt lgkmcnt(0)
	s_delay_alu instid0(VALU_DEP_2) | instskip(SKIP_3) | instid1(VALU_DEP_1)
	v_add_f32_e32 v0, v0, v83
	ds_bpermute_b32 v83, v140, v0
	v_cndmask_b32_e64 v0, -v0, v0, s35
	s_waitcnt lgkmcnt(0)
	v_add_f32_e32 v0, v0, v83
	ds_bpermute_b32 v83, v142, v0
	v_cndmask_b32_e64 v0, -v0, v0, s36
	s_waitcnt lgkmcnt(0)
	s_delay_alu instid0(VALU_DEP_1) | instskip(SKIP_3) | instid1(VALU_DEP_1)
	v_add_f32_e32 v0, v0, v83
	ds_bpermute_b32 v83, v121, v0
	v_cndmask_b32_e64 v0, -v0, v0, s38
	s_waitcnt lgkmcnt(0)
	v_add_f32_e32 v0, v0, v83
	ds_bpermute_b32 v83, v122, v0
	v_cndmask_b32_e64 v0, -v0, v0, s39
	s_waitcnt lgkmcnt(0)
	s_delay_alu instid0(VALU_DEP_1) | instskip(SKIP_3) | instid1(VALU_DEP_1)
	v_dual_add_f32 v83, v0, v83 :: v_dual_sub_f32 v0, v85, v86
	ds_bpermute_b32 v84, v144, v0
	v_cndmask_b32_e64 v0, -v0, v0, s37
	s_waitcnt lgkmcnt(0)
	v_add_f32_e32 v0, v0, v84
	ds_bpermute_b32 v84, v140, v0
	v_cndmask_b32_e64 v0, -v0, v0, s35
	s_waitcnt lgkmcnt(0)
	s_delay_alu instid0(VALU_DEP_1) | instskip(SKIP_3) | instid1(VALU_DEP_1)
	v_add_f32_e32 v0, v0, v84
	ds_bpermute_b32 v84, v142, v0
	v_cndmask_b32_e64 v0, -v0, v0, s36
	s_waitcnt lgkmcnt(0)
	v_add_f32_e32 v0, v0, v84
	ds_bpermute_b32 v84, v121, v0
	v_cndmask_b32_e64 v0, -v0, v0, s38
	s_waitcnt lgkmcnt(0)
	s_delay_alu instid0(VALU_DEP_1) | instskip(SKIP_3) | instid1(VALU_DEP_1)
	v_add_f32_e32 v0, v0, v84
	ds_bpermute_b32 v84, v122, v0
	v_cndmask_b32_e64 v0, -v0, v0, s39
	s_waitcnt lgkmcnt(0)
	v_add_f32_e32 v84, v0, v84
	v_add_f32_e32 v0, v88, v87
	ds_bpermute_b32 v85, v144, v0
	v_cndmask_b32_e64 v0, -v0, v0, s37
	s_waitcnt lgkmcnt(0)
	s_delay_alu instid0(VALU_DEP_1) | instskip(SKIP_4) | instid1(VALU_DEP_1)
	v_add_f32_e32 v0, v0, v85
	v_add_f32_e32 v85, v124, v125
	ds_bpermute_b32 v86, v144, v85
	v_cndmask_b32_e64 v85, -v85, v85, s37
	s_waitcnt lgkmcnt(0)
	v_add_f32_e32 v85, v85, v86
	ds_bpermute_b32 v86, v140, v0
	v_cndmask_b32_e64 v0, -v0, v0, s35
	s_waitcnt lgkmcnt(0)
	s_delay_alu instid0(VALU_DEP_1) | instskip(SKIP_3) | instid1(VALU_DEP_1)
	v_add_f32_e32 v0, v0, v86
	ds_bpermute_b32 v86, v140, v85
	v_cndmask_b32_e64 v85, -v85, v85, s35
	s_waitcnt lgkmcnt(0)
	v_add_f32_e32 v85, v85, v86
	ds_bpermute_b32 v86, v142, v0
	v_cndmask_b32_e64 v0, -v0, v0, s36
	s_waitcnt lgkmcnt(0)
	s_delay_alu instid0(VALU_DEP_1) | instskip(SKIP_3) | instid1(VALU_DEP_1)
	;; [unrolled: 9-line block ×3, first 2 shown]
	v_add_f32_e32 v0, v0, v86
	ds_bpermute_b32 v86, v121, v85
	v_cndmask_b32_e64 v85, -v85, v85, s38
	s_waitcnt lgkmcnt(0)
	v_add_f32_e32 v85, v85, v86
	ds_bpermute_b32 v86, v122, v0
	v_cndmask_b32_e64 v0, -v0, v0, s39
	ds_bpermute_b32 v123, v122, v85
	v_cndmask_b32_e64 v126, -v85, v85, s39
	s_waitcnt lgkmcnt(1)
	v_dual_add_f32 v85, v0, v86 :: v_dual_sub_f32 v0, v87, v88
	s_waitcnt lgkmcnt(0)
	s_delay_alu instid0(VALU_DEP_2) | instskip(SKIP_3) | instid1(VALU_DEP_1)
	v_add_f32_e32 v86, v126, v123
	ds_bpermute_b32 v87, v144, v0
	v_cndmask_b32_e64 v0, -v0, v0, s37
	s_waitcnt lgkmcnt(0)
	v_add_f32_e32 v0, v0, v87
	ds_bpermute_b32 v87, v140, v0
	v_cndmask_b32_e64 v0, -v0, v0, s35
	s_waitcnt lgkmcnt(0)
	s_delay_alu instid0(VALU_DEP_1) | instskip(SKIP_3) | instid1(VALU_DEP_1)
	v_add_f32_e32 v0, v0, v87
	ds_bpermute_b32 v87, v142, v0
	v_cndmask_b32_e64 v0, -v0, v0, s36
	s_waitcnt lgkmcnt(0)
	v_add_f32_e32 v0, v0, v87
	ds_bpermute_b32 v87, v121, v0
	v_cndmask_b32_e64 v0, -v0, v0, s38
	s_waitcnt lgkmcnt(0)
	s_delay_alu instid0(VALU_DEP_1) | instskip(SKIP_3) | instid1(VALU_DEP_1)
	v_add_f32_e32 v0, v0, v87
	ds_bpermute_b32 v87, v122, v0
	v_cndmask_b32_e64 v0, -v0, v0, s39
	s_waitcnt lgkmcnt(0)
	v_add_f32_e32 v87, v0, v87
	v_sub_f32_e32 v0, v124, v125
	ds_bpermute_b32 v88, v144, v0
	v_cndmask_b32_e64 v0, -v0, v0, s37
	s_waitcnt lgkmcnt(0)
	s_delay_alu instid0(VALU_DEP_1) | instskip(SKIP_3) | instid1(VALU_DEP_1)
	v_add_f32_e32 v0, v0, v88
	ds_bpermute_b32 v88, v140, v0
	v_cndmask_b32_e64 v0, -v0, v0, s35
	s_waitcnt lgkmcnt(0)
	v_add_f32_e32 v0, v0, v88
	ds_bpermute_b32 v88, v142, v0
	v_cndmask_b32_e64 v0, -v0, v0, s36
	s_waitcnt lgkmcnt(0)
	s_delay_alu instid0(VALU_DEP_1) | instskip(SKIP_3) | instid1(VALU_DEP_1)
	v_add_f32_e32 v0, v0, v88
	ds_bpermute_b32 v88, v121, v0
	v_cndmask_b32_e64 v0, -v0, v0, s38
	s_waitcnt lgkmcnt(0)
	v_add_f32_e32 v0, v0, v88
	ds_bpermute_b32 v88, v122, v0
	v_cndmask_b32_e64 v0, -v0, v0, s39
	s_waitcnt lgkmcnt(0)
	s_delay_alu instid0(VALU_DEP_1)
	v_add_f32_e32 v88, v0, v88
	v_add_f32_e32 v0, v77, v78
	v_dual_sub_f32 v77, v77, v78 :: v_dual_sub_f32 v78, v79, v80
	ds_store_b128 v138, v[81:84] offset:8192
	ds_store_b128 v138, v[85:88] offset:12288
	v_add_f32_e32 v81, v79, v80
	v_add_f32_e32 v79, v73, v74
	v_sub_f32_e32 v82, v73, v74
	v_add_f32_e32 v80, v75, v76
	v_sub_f32_e32 v83, v75, v76
	v_dual_add_f32 v73, v81, v0 :: v_dual_sub_f32 v0, v0, v81
	ds_bpermute_b32 v74, v144, v73
	v_cndmask_b32_e64 v73, -v73, v73, s37
	s_waitcnt lgkmcnt(0)
	s_delay_alu instid0(VALU_DEP_1) | instskip(SKIP_4) | instid1(VALU_DEP_1)
	v_add_f32_e32 v73, v73, v74
	v_add_f32_e32 v74, v77, v78
	ds_bpermute_b32 v75, v144, v74
	v_cndmask_b32_e64 v74, -v74, v74, s37
	s_waitcnt lgkmcnt(0)
	v_add_f32_e32 v74, v74, v75
	ds_bpermute_b32 v75, v140, v73
	v_cndmask_b32_e64 v73, -v73, v73, s35
	s_waitcnt lgkmcnt(0)
	s_delay_alu instid0(VALU_DEP_1) | instskip(SKIP_3) | instid1(VALU_DEP_1)
	v_add_f32_e32 v73, v73, v75
	ds_bpermute_b32 v75, v140, v74
	v_cndmask_b32_e64 v74, -v74, v74, s35
	s_waitcnt lgkmcnt(0)
	v_add_f32_e32 v74, v74, v75
	ds_bpermute_b32 v75, v142, v73
	v_cndmask_b32_e64 v73, -v73, v73, s36
	s_waitcnt lgkmcnt(0)
	s_delay_alu instid0(VALU_DEP_1) | instskip(SKIP_3) | instid1(VALU_DEP_1)
	;; [unrolled: 9-line block ×3, first 2 shown]
	v_add_f32_e32 v73, v73, v75
	ds_bpermute_b32 v75, v121, v74
	v_cndmask_b32_e64 v74, -v74, v74, s38
	s_waitcnt lgkmcnt(0)
	v_add_f32_e32 v74, v74, v75
	ds_bpermute_b32 v75, v122, v73
	v_cndmask_b32_e64 v73, -v73, v73, s39
	ds_bpermute_b32 v76, v122, v74
	v_cndmask_b32_e64 v74, -v74, v74, s39
	s_waitcnt lgkmcnt(1)
	v_add_f32_e32 v73, v73, v75
	ds_bpermute_b32 v75, v144, v0
	v_cndmask_b32_e64 v0, -v0, v0, s37
	s_waitcnt lgkmcnt(1)
	v_add_f32_e32 v74, v74, v76
	s_waitcnt lgkmcnt(0)
	s_delay_alu instid0(VALU_DEP_2) | instskip(SKIP_3) | instid1(VALU_DEP_1)
	v_add_f32_e32 v0, v0, v75
	ds_bpermute_b32 v75, v140, v0
	v_cndmask_b32_e64 v0, -v0, v0, s35
	s_waitcnt lgkmcnt(0)
	v_add_f32_e32 v0, v0, v75
	ds_bpermute_b32 v75, v142, v0
	v_cndmask_b32_e64 v0, -v0, v0, s36
	s_waitcnt lgkmcnt(0)
	s_delay_alu instid0(VALU_DEP_1) | instskip(SKIP_3) | instid1(VALU_DEP_1)
	v_add_f32_e32 v0, v0, v75
	ds_bpermute_b32 v75, v121, v0
	v_cndmask_b32_e64 v0, -v0, v0, s38
	s_waitcnt lgkmcnt(0)
	v_add_f32_e32 v0, v0, v75
	ds_bpermute_b32 v75, v122, v0
	v_cndmask_b32_e64 v0, -v0, v0, s39
	s_waitcnt lgkmcnt(0)
	s_delay_alu instid0(VALU_DEP_1) | instskip(SKIP_3) | instid1(VALU_DEP_1)
	v_dual_add_f32 v75, v0, v75 :: v_dual_sub_f32 v0, v77, v78
	ds_bpermute_b32 v76, v144, v0
	v_cndmask_b32_e64 v0, -v0, v0, s37
	s_waitcnt lgkmcnt(0)
	v_add_f32_e32 v0, v0, v76
	ds_bpermute_b32 v76, v140, v0
	v_cndmask_b32_e64 v0, -v0, v0, s35
	s_waitcnt lgkmcnt(0)
	s_delay_alu instid0(VALU_DEP_1) | instskip(SKIP_3) | instid1(VALU_DEP_1)
	v_add_f32_e32 v0, v0, v76
	ds_bpermute_b32 v76, v142, v0
	v_cndmask_b32_e64 v0, -v0, v0, s36
	s_waitcnt lgkmcnt(0)
	v_add_f32_e32 v0, v0, v76
	ds_bpermute_b32 v76, v121, v0
	v_cndmask_b32_e64 v0, -v0, v0, s38
	s_waitcnt lgkmcnt(0)
	s_delay_alu instid0(VALU_DEP_1) | instskip(SKIP_3) | instid1(VALU_DEP_1)
	v_add_f32_e32 v0, v0, v76
	ds_bpermute_b32 v76, v122, v0
	v_cndmask_b32_e64 v0, -v0, v0, s39
	s_waitcnt lgkmcnt(0)
	v_add_f32_e32 v76, v0, v76
	v_add_f32_e32 v0, v80, v79
	ds_bpermute_b32 v77, v144, v0
	v_cndmask_b32_e64 v0, -v0, v0, s37
	s_waitcnt lgkmcnt(0)
	s_delay_alu instid0(VALU_DEP_1) | instskip(SKIP_3) | instid1(VALU_DEP_1)
	v_dual_add_f32 v0, v0, v77 :: v_dual_add_f32 v77, v82, v83
	ds_bpermute_b32 v78, v144, v77
	v_cndmask_b32_e64 v77, -v77, v77, s37
	s_waitcnt lgkmcnt(0)
	v_add_f32_e32 v77, v77, v78
	ds_bpermute_b32 v78, v140, v0
	v_cndmask_b32_e64 v0, -v0, v0, s35
	s_waitcnt lgkmcnt(0)
	s_delay_alu instid0(VALU_DEP_1) | instskip(SKIP_3) | instid1(VALU_DEP_1)
	v_add_f32_e32 v0, v0, v78
	ds_bpermute_b32 v78, v140, v77
	v_cndmask_b32_e64 v77, -v77, v77, s35
	s_waitcnt lgkmcnt(0)
	v_add_f32_e32 v77, v77, v78
	ds_bpermute_b32 v78, v142, v0
	v_cndmask_b32_e64 v0, -v0, v0, s36
	s_waitcnt lgkmcnt(0)
	s_delay_alu instid0(VALU_DEP_1) | instskip(SKIP_3) | instid1(VALU_DEP_1)
	v_add_f32_e32 v0, v0, v78
	;; [unrolled: 9-line block ×3, first 2 shown]
	ds_bpermute_b32 v78, v121, v77
	v_cndmask_b32_e64 v77, -v77, v77, s38
	s_waitcnt lgkmcnt(0)
	v_add_f32_e32 v77, v77, v78
	ds_bpermute_b32 v78, v122, v0
	v_cndmask_b32_e64 v0, -v0, v0, s39
	ds_bpermute_b32 v81, v122, v77
	v_cndmask_b32_e64 v84, -v77, v77, s39
	s_waitcnt lgkmcnt(1)
	v_dual_add_f32 v77, v0, v78 :: v_dual_sub_f32 v0, v79, v80
	s_waitcnt lgkmcnt(0)
	s_delay_alu instid0(VALU_DEP_2) | instskip(SKIP_3) | instid1(VALU_DEP_1)
	v_add_f32_e32 v78, v84, v81
	ds_bpermute_b32 v79, v144, v0
	v_cndmask_b32_e64 v0, -v0, v0, s37
	s_waitcnt lgkmcnt(0)
	v_add_f32_e32 v0, v0, v79
	ds_bpermute_b32 v79, v140, v0
	v_cndmask_b32_e64 v0, -v0, v0, s35
	s_waitcnt lgkmcnt(0)
	s_delay_alu instid0(VALU_DEP_1) | instskip(SKIP_3) | instid1(VALU_DEP_1)
	v_add_f32_e32 v0, v0, v79
	ds_bpermute_b32 v79, v142, v0
	v_cndmask_b32_e64 v0, -v0, v0, s36
	s_waitcnt lgkmcnt(0)
	v_add_f32_e32 v0, v0, v79
	ds_bpermute_b32 v79, v121, v0
	v_cndmask_b32_e64 v0, -v0, v0, s38
	s_waitcnt lgkmcnt(0)
	s_delay_alu instid0(VALU_DEP_1) | instskip(SKIP_3) | instid1(VALU_DEP_1)
	v_add_f32_e32 v0, v0, v79
	ds_bpermute_b32 v79, v122, v0
	v_cndmask_b32_e64 v0, -v0, v0, s39
	s_waitcnt lgkmcnt(0)
	v_add_f32_e32 v79, v0, v79
	v_sub_f32_e32 v0, v82, v83
	ds_bpermute_b32 v80, v144, v0
	v_cndmask_b32_e64 v0, -v0, v0, s37
	s_waitcnt lgkmcnt(0)
	s_delay_alu instid0(VALU_DEP_1) | instskip(SKIP_3) | instid1(VALU_DEP_1)
	v_add_f32_e32 v0, v0, v80
	ds_bpermute_b32 v80, v140, v0
	v_cndmask_b32_e64 v0, -v0, v0, s35
	s_waitcnt lgkmcnt(0)
	v_add_f32_e32 v0, v0, v80
	ds_bpermute_b32 v80, v142, v0
	v_cndmask_b32_e64 v0, -v0, v0, s36
	s_waitcnt lgkmcnt(0)
	s_delay_alu instid0(VALU_DEP_1) | instskip(SKIP_3) | instid1(VALU_DEP_1)
	v_add_f32_e32 v0, v0, v80
	ds_bpermute_b32 v80, v121, v0
	v_cndmask_b32_e64 v0, -v0, v0, s38
	s_waitcnt lgkmcnt(0)
	v_add_f32_e32 v0, v0, v80
	ds_bpermute_b32 v80, v122, v0
	v_cndmask_b32_e64 v0, -v0, v0, s39
	s_waitcnt lgkmcnt(0)
	s_delay_alu instid0(VALU_DEP_1)
	v_add_f32_e32 v80, v0, v80
	v_add_f32_e32 v0, v69, v70
	ds_store_b128 v138, v[73:76] offset:16384
	ds_store_b128 v138, v[77:80] offset:20480
	v_add_f32_e32 v73, v71, v72
	v_dual_sub_f32 v69, v69, v70 :: v_dual_sub_f32 v70, v71, v72
	v_add_f32_e32 v71, v65, v66
	v_sub_f32_e32 v74, v65, v66
	s_delay_alu instid0(VALU_DEP_4)
	v_add_f32_e32 v65, v73, v0
	v_add_f32_e32 v72, v67, v68
	v_dual_sub_f32 v75, v67, v68 :: v_dual_sub_f32 v0, v0, v73
	ds_bpermute_b32 v66, v144, v65
	v_cndmask_b32_e64 v65, -v65, v65, s37
	s_waitcnt lgkmcnt(0)
	s_delay_alu instid0(VALU_DEP_1) | instskip(SKIP_4) | instid1(VALU_DEP_1)
	v_add_f32_e32 v65, v65, v66
	v_add_f32_e32 v66, v69, v70
	ds_bpermute_b32 v67, v144, v66
	v_cndmask_b32_e64 v66, -v66, v66, s37
	s_waitcnt lgkmcnt(0)
	v_add_f32_e32 v66, v66, v67
	ds_bpermute_b32 v67, v140, v65
	v_cndmask_b32_e64 v65, -v65, v65, s35
	s_waitcnt lgkmcnt(0)
	s_delay_alu instid0(VALU_DEP_1) | instskip(SKIP_3) | instid1(VALU_DEP_1)
	v_add_f32_e32 v65, v65, v67
	ds_bpermute_b32 v67, v140, v66
	v_cndmask_b32_e64 v66, -v66, v66, s35
	s_waitcnt lgkmcnt(0)
	v_add_f32_e32 v66, v66, v67
	ds_bpermute_b32 v67, v142, v65
	v_cndmask_b32_e64 v65, -v65, v65, s36
	s_waitcnt lgkmcnt(0)
	s_delay_alu instid0(VALU_DEP_1) | instskip(SKIP_3) | instid1(VALU_DEP_1)
	;; [unrolled: 9-line block ×3, first 2 shown]
	v_add_f32_e32 v65, v65, v67
	ds_bpermute_b32 v67, v121, v66
	v_cndmask_b32_e64 v66, -v66, v66, s38
	s_waitcnt lgkmcnt(0)
	v_add_f32_e32 v66, v66, v67
	ds_bpermute_b32 v67, v122, v65
	v_cndmask_b32_e64 v65, -v65, v65, s39
	ds_bpermute_b32 v68, v122, v66
	v_cndmask_b32_e64 v66, -v66, v66, s39
	s_waitcnt lgkmcnt(1)
	v_add_f32_e32 v65, v65, v67
	ds_bpermute_b32 v67, v144, v0
	v_cndmask_b32_e64 v0, -v0, v0, s37
	s_waitcnt lgkmcnt(1)
	v_add_f32_e32 v66, v66, v68
	s_waitcnt lgkmcnt(0)
	s_delay_alu instid0(VALU_DEP_2) | instskip(SKIP_3) | instid1(VALU_DEP_1)
	v_add_f32_e32 v0, v0, v67
	ds_bpermute_b32 v67, v140, v0
	v_cndmask_b32_e64 v0, -v0, v0, s35
	s_waitcnt lgkmcnt(0)
	v_add_f32_e32 v0, v0, v67
	ds_bpermute_b32 v67, v142, v0
	v_cndmask_b32_e64 v0, -v0, v0, s36
	s_waitcnt lgkmcnt(0)
	s_delay_alu instid0(VALU_DEP_1) | instskip(SKIP_3) | instid1(VALU_DEP_1)
	v_add_f32_e32 v0, v0, v67
	ds_bpermute_b32 v67, v121, v0
	v_cndmask_b32_e64 v0, -v0, v0, s38
	s_waitcnt lgkmcnt(0)
	v_add_f32_e32 v0, v0, v67
	ds_bpermute_b32 v67, v122, v0
	v_cndmask_b32_e64 v0, -v0, v0, s39
	s_waitcnt lgkmcnt(0)
	s_delay_alu instid0(VALU_DEP_1) | instskip(SKIP_3) | instid1(VALU_DEP_1)
	v_dual_add_f32 v67, v0, v67 :: v_dual_sub_f32 v0, v69, v70
	ds_bpermute_b32 v68, v144, v0
	v_cndmask_b32_e64 v0, -v0, v0, s37
	s_waitcnt lgkmcnt(0)
	v_add_f32_e32 v0, v0, v68
	ds_bpermute_b32 v68, v140, v0
	v_cndmask_b32_e64 v0, -v0, v0, s35
	s_waitcnt lgkmcnt(0)
	s_delay_alu instid0(VALU_DEP_1) | instskip(SKIP_3) | instid1(VALU_DEP_1)
	v_add_f32_e32 v0, v0, v68
	ds_bpermute_b32 v68, v142, v0
	v_cndmask_b32_e64 v0, -v0, v0, s36
	s_waitcnt lgkmcnt(0)
	v_add_f32_e32 v0, v0, v68
	ds_bpermute_b32 v68, v121, v0
	v_cndmask_b32_e64 v0, -v0, v0, s38
	s_waitcnt lgkmcnt(0)
	s_delay_alu instid0(VALU_DEP_1) | instskip(SKIP_3) | instid1(VALU_DEP_1)
	v_add_f32_e32 v0, v0, v68
	ds_bpermute_b32 v68, v122, v0
	v_cndmask_b32_e64 v0, -v0, v0, s39
	s_waitcnt lgkmcnt(0)
	v_add_f32_e32 v68, v0, v68
	v_add_f32_e32 v0, v72, v71
	ds_bpermute_b32 v69, v144, v0
	v_cndmask_b32_e64 v0, -v0, v0, s37
	s_waitcnt lgkmcnt(0)
	s_delay_alu instid0(VALU_DEP_1) | instskip(SKIP_3) | instid1(VALU_DEP_1)
	v_dual_add_f32 v0, v0, v69 :: v_dual_add_f32 v69, v74, v75
	ds_bpermute_b32 v70, v144, v69
	v_cndmask_b32_e64 v69, -v69, v69, s37
	s_waitcnt lgkmcnt(0)
	v_add_f32_e32 v69, v69, v70
	ds_bpermute_b32 v70, v140, v0
	v_cndmask_b32_e64 v0, -v0, v0, s35
	s_waitcnt lgkmcnt(0)
	s_delay_alu instid0(VALU_DEP_1) | instskip(SKIP_3) | instid1(VALU_DEP_1)
	v_add_f32_e32 v0, v0, v70
	ds_bpermute_b32 v70, v140, v69
	v_cndmask_b32_e64 v69, -v69, v69, s35
	s_waitcnt lgkmcnt(0)
	v_add_f32_e32 v69, v69, v70
	ds_bpermute_b32 v70, v142, v0
	v_cndmask_b32_e64 v0, -v0, v0, s36
	s_waitcnt lgkmcnt(0)
	s_delay_alu instid0(VALU_DEP_1) | instskip(SKIP_3) | instid1(VALU_DEP_1)
	v_add_f32_e32 v0, v0, v70
	;; [unrolled: 9-line block ×3, first 2 shown]
	ds_bpermute_b32 v70, v121, v69
	v_cndmask_b32_e64 v69, -v69, v69, s38
	s_waitcnt lgkmcnt(0)
	v_add_f32_e32 v69, v69, v70
	ds_bpermute_b32 v70, v122, v0
	v_cndmask_b32_e64 v0, -v0, v0, s39
	ds_bpermute_b32 v73, v122, v69
	v_cndmask_b32_e64 v76, -v69, v69, s39
	s_waitcnt lgkmcnt(1)
	v_dual_add_f32 v69, v0, v70 :: v_dual_sub_f32 v0, v71, v72
	ds_bpermute_b32 v71, v144, v0
	v_cndmask_b32_e64 v0, -v0, v0, s37
	s_waitcnt lgkmcnt(0)
	s_delay_alu instid0(VALU_DEP_1) | instskip(SKIP_3) | instid1(VALU_DEP_1)
	v_add_f32_e32 v0, v0, v71
	ds_bpermute_b32 v71, v140, v0
	v_cndmask_b32_e64 v0, -v0, v0, s35
	s_waitcnt lgkmcnt(0)
	v_add_f32_e32 v0, v0, v71
	ds_bpermute_b32 v71, v142, v0
	v_cndmask_b32_e64 v0, -v0, v0, s36
	s_waitcnt lgkmcnt(0)
	s_delay_alu instid0(VALU_DEP_1) | instskip(SKIP_3) | instid1(VALU_DEP_1)
	v_add_f32_e32 v0, v0, v71
	ds_bpermute_b32 v71, v121, v0
	v_cndmask_b32_e64 v0, -v0, v0, s38
	s_waitcnt lgkmcnt(0)
	v_add_f32_e32 v0, v0, v71
	ds_bpermute_b32 v71, v122, v0
	v_cndmask_b32_e64 v0, -v0, v0, s39
	s_waitcnt lgkmcnt(0)
	s_delay_alu instid0(VALU_DEP_1) | instskip(SKIP_4) | instid1(VALU_DEP_1)
	v_add_f32_e32 v71, v0, v71
	v_sub_f32_e32 v0, v74, v75
	ds_bpermute_b32 v72, v144, v0
	v_cndmask_b32_e64 v0, -v0, v0, s37
	s_waitcnt lgkmcnt(0)
	v_add_f32_e32 v0, v0, v72
	ds_bpermute_b32 v72, v140, v0
	v_cndmask_b32_e64 v0, -v0, v0, s35
	s_waitcnt lgkmcnt(0)
	s_delay_alu instid0(VALU_DEP_1) | instskip(SKIP_3) | instid1(VALU_DEP_1)
	v_add_f32_e32 v0, v0, v72
	ds_bpermute_b32 v72, v142, v0
	v_cndmask_b32_e64 v0, -v0, v0, s36
	s_waitcnt lgkmcnt(0)
	v_add_f32_e32 v0, v0, v72
	ds_bpermute_b32 v72, v121, v0
	v_cndmask_b32_e64 v0, -v0, v0, s38
	s_waitcnt lgkmcnt(0)
	s_delay_alu instid0(VALU_DEP_1) | instskip(SKIP_3) | instid1(VALU_DEP_1)
	v_add_f32_e32 v0, v0, v72
	ds_bpermute_b32 v72, v122, v0
	v_cndmask_b32_e64 v0, -v0, v0, s39
	s_waitcnt lgkmcnt(0)
	v_add_f32_e32 v72, v0, v72
	v_add_f32_e32 v0, v61, v62
	;; [unrolled: 1-line block ×3, first 2 shown]
	ds_store_b128 v138, v[65:68] offset:24576
	ds_store_b128 v138, v[69:72] offset:28672
	v_add_f32_e32 v65, v63, v64
	v_dual_sub_f32 v61, v61, v62 :: v_dual_sub_f32 v62, v63, v64
	v_dual_add_f32 v63, v57, v58 :: v_dual_add_f32 v64, v59, v60
	v_dual_sub_f32 v57, v57, v58 :: v_dual_sub_f32 v58, v59, v60
	s_delay_alu instid0(VALU_DEP_4)
	v_dual_add_f32 v59, v65, v0 :: v_dual_sub_f32 v0, v0, v65
	s_waitcnt lgkmcnt(0)
	s_barrier
	buffer_gl0_inv
	ds_bpermute_b32 v60, v144, v59
	v_cndmask_b32_e64 v59, -v59, v59, s37
	s_waitcnt lgkmcnt(0)
	s_delay_alu instid0(VALU_DEP_1) | instskip(SKIP_3) | instid1(VALU_DEP_1)
	v_dual_add_f32 v59, v59, v60 :: v_dual_add_f32 v60, v61, v62
	ds_bpermute_b32 v66, v144, v60
	v_cndmask_b32_e64 v60, -v60, v60, s37
	s_waitcnt lgkmcnt(0)
	v_add_f32_e32 v60, v60, v66
	ds_bpermute_b32 v66, v140, v59
	v_cndmask_b32_e64 v59, -v59, v59, s35
	s_waitcnt lgkmcnt(0)
	s_delay_alu instid0(VALU_DEP_1) | instskip(SKIP_3) | instid1(VALU_DEP_1)
	v_add_f32_e32 v59, v59, v66
	ds_bpermute_b32 v66, v140, v60
	v_cndmask_b32_e64 v60, -v60, v60, s35
	s_waitcnt lgkmcnt(0)
	v_add_f32_e32 v60, v60, v66
	ds_bpermute_b32 v66, v142, v59
	v_cndmask_b32_e64 v59, -v59, v59, s36
	s_waitcnt lgkmcnt(0)
	s_delay_alu instid0(VALU_DEP_1) | instskip(SKIP_3) | instid1(VALU_DEP_1)
	v_add_f32_e32 v59, v59, v66
	;; [unrolled: 9-line block ×3, first 2 shown]
	ds_bpermute_b32 v66, v121, v60
	v_cndmask_b32_e64 v60, -v60, v60, s38
	s_waitcnt lgkmcnt(0)
	v_add_f32_e32 v60, v60, v66
	ds_bpermute_b32 v66, v122, v59
	v_cndmask_b32_e64 v59, -v59, v59, s39
	ds_bpermute_b32 v67, v122, v60
	v_cndmask_b32_e64 v60, -v60, v60, s39
	s_waitcnt lgkmcnt(1)
	v_add_f32_e32 v123, v59, v66
	ds_bpermute_b32 v59, v144, v0
	v_cndmask_b32_e64 v0, -v0, v0, s37
	s_waitcnt lgkmcnt(1)
	v_add_f32_e32 v124, v60, v67
	s_waitcnt lgkmcnt(0)
	s_delay_alu instid0(VALU_DEP_2) | instskip(SKIP_3) | instid1(VALU_DEP_1)
	v_add_f32_e32 v0, v0, v59
	ds_bpermute_b32 v59, v140, v0
	v_cndmask_b32_e64 v0, -v0, v0, s35
	s_waitcnt lgkmcnt(0)
	v_add_f32_e32 v0, v0, v59
	ds_bpermute_b32 v59, v142, v0
	v_cndmask_b32_e64 v0, -v0, v0, s36
	s_waitcnt lgkmcnt(0)
	s_delay_alu instid0(VALU_DEP_1) | instskip(SKIP_3) | instid1(VALU_DEP_1)
	v_add_f32_e32 v0, v0, v59
	ds_bpermute_b32 v59, v121, v0
	v_cndmask_b32_e64 v0, -v0, v0, s38
	s_waitcnt lgkmcnt(0)
	v_add_f32_e32 v0, v0, v59
	ds_bpermute_b32 v59, v122, v0
	v_cndmask_b32_e64 v0, -v0, v0, s39
	s_waitcnt lgkmcnt(0)
	s_delay_alu instid0(VALU_DEP_1) | instskip(SKIP_3) | instid1(VALU_DEP_1)
	v_dual_add_f32 v125, v0, v59 :: v_dual_sub_f32 v0, v61, v62
	ds_bpermute_b32 v59, v144, v0
	v_cndmask_b32_e64 v0, -v0, v0, s37
	s_waitcnt lgkmcnt(0)
	v_add_f32_e32 v0, v0, v59
	ds_bpermute_b32 v59, v140, v0
	v_cndmask_b32_e64 v0, -v0, v0, s35
	s_waitcnt lgkmcnt(0)
	s_delay_alu instid0(VALU_DEP_1) | instskip(SKIP_3) | instid1(VALU_DEP_1)
	v_add_f32_e32 v0, v0, v59
	ds_bpermute_b32 v59, v142, v0
	v_cndmask_b32_e64 v0, -v0, v0, s36
	s_waitcnt lgkmcnt(0)
	v_add_f32_e32 v0, v0, v59
	ds_bpermute_b32 v59, v121, v0
	v_cndmask_b32_e64 v0, -v0, v0, s38
	s_waitcnt lgkmcnt(0)
	s_delay_alu instid0(VALU_DEP_1) | instskip(SKIP_3) | instid1(VALU_DEP_1)
	v_add_f32_e32 v0, v0, v59
	ds_bpermute_b32 v59, v122, v0
	v_cndmask_b32_e64 v0, -v0, v0, s39
	s_waitcnt lgkmcnt(0)
	v_add_f32_e32 v126, v0, v59
	v_add_f32_e32 v0, v64, v63
	ds_bpermute_b32 v59, v144, v0
	v_cndmask_b32_e64 v0, -v0, v0, s37
	s_waitcnt lgkmcnt(0)
	s_delay_alu instid0(VALU_DEP_1) | instskip(SKIP_3) | instid1(VALU_DEP_1)
	v_dual_add_f32 v0, v0, v59 :: v_dual_add_f32 v59, v57, v58
	ds_bpermute_b32 v60, v144, v59
	v_cndmask_b32_e64 v59, -v59, v59, s37
	s_waitcnt lgkmcnt(0)
	v_add_f32_e32 v59, v59, v60
	ds_bpermute_b32 v60, v140, v0
	v_cndmask_b32_e64 v0, -v0, v0, s35
	s_waitcnt lgkmcnt(0)
	s_delay_alu instid0(VALU_DEP_1) | instskip(SKIP_3) | instid1(VALU_DEP_1)
	v_add_f32_e32 v0, v0, v60
	ds_bpermute_b32 v60, v140, v59
	v_cndmask_b32_e64 v59, -v59, v59, s35
	s_waitcnt lgkmcnt(0)
	v_add_f32_e32 v59, v59, v60
	ds_bpermute_b32 v60, v142, v0
	v_cndmask_b32_e64 v0, -v0, v0, s36
	s_waitcnt lgkmcnt(0)
	s_delay_alu instid0(VALU_DEP_1) | instskip(SKIP_3) | instid1(VALU_DEP_1)
	v_add_f32_e32 v0, v0, v60
	;; [unrolled: 9-line block ×3, first 2 shown]
	ds_bpermute_b32 v60, v121, v59
	v_cndmask_b32_e64 v59, -v59, v59, s38
	s_waitcnt lgkmcnt(0)
	v_add_f32_e32 v59, v59, v60
	ds_bpermute_b32 v60, v122, v0
	v_cndmask_b32_e64 v0, -v0, v0, s39
	ds_bpermute_b32 v61, v122, v59
	v_cndmask_b32_e64 v59, -v59, v59, s39
	s_waitcnt lgkmcnt(1)
	v_add_f32_e32 v127, v0, v60
	v_sub_f32_e32 v0, v63, v64
	s_waitcnt lgkmcnt(0)
	v_add_f32_e32 v128, v59, v61
	ds_bpermute_b32 v59, v144, v0
	v_cndmask_b32_e64 v0, -v0, v0, s37
	s_waitcnt lgkmcnt(0)
	s_delay_alu instid0(VALU_DEP_1) | instskip(SKIP_3) | instid1(VALU_DEP_1)
	v_add_f32_e32 v0, v0, v59
	ds_bpermute_b32 v59, v140, v0
	v_cndmask_b32_e64 v0, -v0, v0, s35
	s_waitcnt lgkmcnt(0)
	v_add_f32_e32 v0, v0, v59
	ds_bpermute_b32 v59, v142, v0
	v_cndmask_b32_e64 v0, -v0, v0, s36
	s_waitcnt lgkmcnt(0)
	s_delay_alu instid0(VALU_DEP_1) | instskip(SKIP_3) | instid1(VALU_DEP_1)
	v_add_f32_e32 v0, v0, v59
	ds_bpermute_b32 v59, v121, v0
	v_cndmask_b32_e64 v0, -v0, v0, s38
	s_waitcnt lgkmcnt(0)
	v_add_f32_e32 v0, v0, v59
	ds_bpermute_b32 v59, v122, v0
	v_cndmask_b32_e64 v0, -v0, v0, s39
	s_waitcnt lgkmcnt(0)
	s_delay_alu instid0(VALU_DEP_1) | instskip(SKIP_3) | instid1(VALU_DEP_1)
	v_dual_add_f32 v129, v0, v59 :: v_dual_sub_f32 v0, v57, v58
	ds_bpermute_b32 v57, v144, v0
	v_cndmask_b32_e64 v0, -v0, v0, s37
	s_waitcnt lgkmcnt(0)
	v_add_f32_e32 v0, v0, v57
	ds_bpermute_b32 v57, v140, v0
	v_cndmask_b32_e64 v0, -v0, v0, s35
	s_waitcnt lgkmcnt(0)
	s_delay_alu instid0(VALU_DEP_1) | instskip(SKIP_3) | instid1(VALU_DEP_1)
	v_add_f32_e32 v0, v0, v57
	ds_bpermute_b32 v57, v142, v0
	v_cndmask_b32_e64 v0, -v0, v0, s36
	s_waitcnt lgkmcnt(0)
	v_add_f32_e32 v0, v0, v57
	ds_bpermute_b32 v57, v121, v0
	v_cndmask_b32_e64 v0, -v0, v0, s38
	s_waitcnt lgkmcnt(0)
	s_delay_alu instid0(VALU_DEP_1) | instskip(SKIP_3) | instid1(VALU_DEP_1)
	v_add_f32_e32 v0, v0, v57
	ds_bpermute_b32 v57, v122, v0
	v_cndmask_b32_e64 v0, -v0, v0, s39
	s_waitcnt lgkmcnt(0)
	v_add_f32_e32 v130, v0, v57
	ds_load_b128 v[85:88], v146
	ds_load_b128 v[81:84], v146 offset:4096
	ds_load_b128 v[77:80], v146 offset:8192
	;; [unrolled: 1-line block ×7, first 2 shown]
	s_waitcnt lgkmcnt(0)
	s_barrier
	buffer_gl0_inv
	ds_store_b128 v138, v[123:126]
	ds_store_b128 v138, v[127:130] offset:4096
	v_dual_add_f32 v0, v53, v54 :: v_dual_add_f32 v123, v55, v56
	v_dual_sub_f32 v53, v53, v54 :: v_dual_sub_f32 v54, v55, v56
	v_add_f32_e32 v55, v49, v50
	s_delay_alu instid0(VALU_DEP_3)
	v_dual_sub_f32 v124, v49, v50 :: v_dual_add_f32 v49, v123, v0
	v_add_f32_e32 v56, v51, v52
	v_dual_sub_f32 v125, v51, v52 :: v_dual_sub_f32 v0, v0, v123
	ds_bpermute_b32 v50, v144, v49
	v_cndmask_b32_e64 v49, -v49, v49, s37
	s_waitcnt lgkmcnt(0)
	s_delay_alu instid0(VALU_DEP_1) | instskip(SKIP_4) | instid1(VALU_DEP_1)
	v_add_f32_e32 v49, v49, v50
	v_add_f32_e32 v50, v53, v54
	ds_bpermute_b32 v51, v144, v50
	v_cndmask_b32_e64 v50, -v50, v50, s37
	s_waitcnt lgkmcnt(0)
	v_add_f32_e32 v50, v50, v51
	ds_bpermute_b32 v51, v140, v49
	v_cndmask_b32_e64 v49, -v49, v49, s35
	s_waitcnt lgkmcnt(0)
	s_delay_alu instid0(VALU_DEP_1) | instskip(SKIP_3) | instid1(VALU_DEP_1)
	v_add_f32_e32 v49, v49, v51
	ds_bpermute_b32 v51, v140, v50
	v_cndmask_b32_e64 v50, -v50, v50, s35
	s_waitcnt lgkmcnt(0)
	v_add_f32_e32 v50, v50, v51
	ds_bpermute_b32 v51, v142, v49
	v_cndmask_b32_e64 v49, -v49, v49, s36
	s_waitcnt lgkmcnt(0)
	s_delay_alu instid0(VALU_DEP_1) | instskip(SKIP_3) | instid1(VALU_DEP_1)
	;; [unrolled: 9-line block ×3, first 2 shown]
	v_add_f32_e32 v49, v49, v51
	ds_bpermute_b32 v51, v121, v50
	v_cndmask_b32_e64 v50, -v50, v50, s38
	s_waitcnt lgkmcnt(0)
	v_add_f32_e32 v50, v50, v51
	ds_bpermute_b32 v51, v122, v49
	v_cndmask_b32_e64 v49, -v49, v49, s39
	ds_bpermute_b32 v52, v122, v50
	v_cndmask_b32_e64 v50, -v50, v50, s39
	s_waitcnt lgkmcnt(1)
	v_add_f32_e32 v49, v49, v51
	ds_bpermute_b32 v51, v144, v0
	v_cndmask_b32_e64 v0, -v0, v0, s37
	s_waitcnt lgkmcnt(1)
	v_add_f32_e32 v50, v50, v52
	s_waitcnt lgkmcnt(0)
	s_delay_alu instid0(VALU_DEP_2) | instskip(SKIP_3) | instid1(VALU_DEP_1)
	v_add_f32_e32 v0, v0, v51
	ds_bpermute_b32 v51, v140, v0
	v_cndmask_b32_e64 v0, -v0, v0, s35
	s_waitcnt lgkmcnt(0)
	v_add_f32_e32 v0, v0, v51
	ds_bpermute_b32 v51, v142, v0
	v_cndmask_b32_e64 v0, -v0, v0, s36
	s_waitcnt lgkmcnt(0)
	s_delay_alu instid0(VALU_DEP_1) | instskip(SKIP_3) | instid1(VALU_DEP_1)
	v_add_f32_e32 v0, v0, v51
	ds_bpermute_b32 v51, v121, v0
	v_cndmask_b32_e64 v0, -v0, v0, s38
	s_waitcnt lgkmcnt(0)
	v_add_f32_e32 v0, v0, v51
	ds_bpermute_b32 v51, v122, v0
	v_cndmask_b32_e64 v0, -v0, v0, s39
	s_waitcnt lgkmcnt(0)
	s_delay_alu instid0(VALU_DEP_1) | instskip(SKIP_3) | instid1(VALU_DEP_1)
	v_dual_add_f32 v51, v0, v51 :: v_dual_sub_f32 v0, v53, v54
	ds_bpermute_b32 v52, v144, v0
	v_cndmask_b32_e64 v0, -v0, v0, s37
	s_waitcnt lgkmcnt(0)
	v_add_f32_e32 v0, v0, v52
	ds_bpermute_b32 v52, v140, v0
	v_cndmask_b32_e64 v0, -v0, v0, s35
	s_waitcnt lgkmcnt(0)
	s_delay_alu instid0(VALU_DEP_1) | instskip(SKIP_3) | instid1(VALU_DEP_1)
	v_add_f32_e32 v0, v0, v52
	ds_bpermute_b32 v52, v142, v0
	v_cndmask_b32_e64 v0, -v0, v0, s36
	s_waitcnt lgkmcnt(0)
	v_add_f32_e32 v0, v0, v52
	ds_bpermute_b32 v52, v121, v0
	v_cndmask_b32_e64 v0, -v0, v0, s38
	s_waitcnt lgkmcnt(0)
	s_delay_alu instid0(VALU_DEP_1) | instskip(SKIP_3) | instid1(VALU_DEP_1)
	v_add_f32_e32 v0, v0, v52
	ds_bpermute_b32 v52, v122, v0
	v_cndmask_b32_e64 v0, -v0, v0, s39
	s_waitcnt lgkmcnt(0)
	v_add_f32_e32 v52, v0, v52
	v_add_f32_e32 v0, v56, v55
	ds_bpermute_b32 v53, v144, v0
	v_cndmask_b32_e64 v0, -v0, v0, s37
	s_waitcnt lgkmcnt(0)
	s_delay_alu instid0(VALU_DEP_1) | instskip(SKIP_4) | instid1(VALU_DEP_1)
	v_add_f32_e32 v0, v0, v53
	v_add_f32_e32 v53, v124, v125
	ds_bpermute_b32 v54, v144, v53
	v_cndmask_b32_e64 v53, -v53, v53, s37
	s_waitcnt lgkmcnt(0)
	v_add_f32_e32 v53, v53, v54
	ds_bpermute_b32 v54, v140, v0
	v_cndmask_b32_e64 v0, -v0, v0, s35
	s_waitcnt lgkmcnt(0)
	s_delay_alu instid0(VALU_DEP_1) | instskip(SKIP_3) | instid1(VALU_DEP_1)
	v_add_f32_e32 v0, v0, v54
	ds_bpermute_b32 v54, v140, v53
	v_cndmask_b32_e64 v53, -v53, v53, s35
	s_waitcnt lgkmcnt(0)
	v_add_f32_e32 v53, v53, v54
	ds_bpermute_b32 v54, v142, v0
	v_cndmask_b32_e64 v0, -v0, v0, s36
	s_waitcnt lgkmcnt(0)
	s_delay_alu instid0(VALU_DEP_1) | instskip(SKIP_3) | instid1(VALU_DEP_1)
	;; [unrolled: 9-line block ×3, first 2 shown]
	v_add_f32_e32 v0, v0, v54
	ds_bpermute_b32 v54, v121, v53
	v_cndmask_b32_e64 v53, -v53, v53, s38
	s_waitcnt lgkmcnt(0)
	v_add_f32_e32 v53, v53, v54
	ds_bpermute_b32 v54, v122, v0
	v_cndmask_b32_e64 v0, -v0, v0, s39
	ds_bpermute_b32 v123, v122, v53
	v_cndmask_b32_e64 v126, -v53, v53, s39
	s_waitcnt lgkmcnt(1)
	v_dual_add_f32 v53, v0, v54 :: v_dual_sub_f32 v0, v55, v56
	s_waitcnt lgkmcnt(0)
	s_delay_alu instid0(VALU_DEP_2) | instskip(SKIP_3) | instid1(VALU_DEP_1)
	v_add_f32_e32 v54, v126, v123
	ds_bpermute_b32 v55, v144, v0
	v_cndmask_b32_e64 v0, -v0, v0, s37
	s_waitcnt lgkmcnt(0)
	v_add_f32_e32 v0, v0, v55
	ds_bpermute_b32 v55, v140, v0
	v_cndmask_b32_e64 v0, -v0, v0, s35
	s_waitcnt lgkmcnt(0)
	s_delay_alu instid0(VALU_DEP_1) | instskip(SKIP_3) | instid1(VALU_DEP_1)
	v_add_f32_e32 v0, v0, v55
	ds_bpermute_b32 v55, v142, v0
	v_cndmask_b32_e64 v0, -v0, v0, s36
	s_waitcnt lgkmcnt(0)
	v_add_f32_e32 v0, v0, v55
	ds_bpermute_b32 v55, v121, v0
	v_cndmask_b32_e64 v0, -v0, v0, s38
	s_waitcnt lgkmcnt(0)
	s_delay_alu instid0(VALU_DEP_1) | instskip(SKIP_3) | instid1(VALU_DEP_1)
	v_add_f32_e32 v0, v0, v55
	ds_bpermute_b32 v55, v122, v0
	v_cndmask_b32_e64 v0, -v0, v0, s39
	s_waitcnt lgkmcnt(0)
	v_add_f32_e32 v55, v0, v55
	v_sub_f32_e32 v0, v124, v125
	ds_bpermute_b32 v56, v144, v0
	v_cndmask_b32_e64 v0, -v0, v0, s37
	s_waitcnt lgkmcnt(0)
	s_delay_alu instid0(VALU_DEP_1) | instskip(SKIP_3) | instid1(VALU_DEP_1)
	v_add_f32_e32 v0, v0, v56
	ds_bpermute_b32 v56, v140, v0
	v_cndmask_b32_e64 v0, -v0, v0, s35
	s_waitcnt lgkmcnt(0)
	v_add_f32_e32 v0, v0, v56
	ds_bpermute_b32 v56, v142, v0
	v_cndmask_b32_e64 v0, -v0, v0, s36
	s_waitcnt lgkmcnt(0)
	s_delay_alu instid0(VALU_DEP_1) | instskip(SKIP_3) | instid1(VALU_DEP_1)
	v_add_f32_e32 v0, v0, v56
	ds_bpermute_b32 v56, v121, v0
	v_cndmask_b32_e64 v0, -v0, v0, s38
	s_waitcnt lgkmcnt(0)
	v_add_f32_e32 v0, v0, v56
	ds_bpermute_b32 v56, v122, v0
	v_cndmask_b32_e64 v0, -v0, v0, s39
	s_waitcnt lgkmcnt(0)
	s_delay_alu instid0(VALU_DEP_1)
	v_add_f32_e32 v56, v0, v56
	ds_store_b128 v138, v[49:52] offset:8192
	ds_store_b128 v138, v[53:56] offset:12288
	v_dual_add_f32 v0, v45, v46 :: v_dual_add_f32 v49, v47, v48
	v_dual_sub_f32 v45, v45, v46 :: v_dual_sub_f32 v46, v47, v48
	v_add_f32_e32 v47, v41, v42
	v_sub_f32_e32 v50, v41, v42
	s_delay_alu instid0(VALU_DEP_4)
	v_add_f32_e32 v41, v49, v0
	v_add_f32_e32 v48, v43, v44
	v_dual_sub_f32 v51, v43, v44 :: v_dual_sub_f32 v0, v0, v49
	ds_bpermute_b32 v42, v144, v41
	v_cndmask_b32_e64 v41, -v41, v41, s37
	s_waitcnt lgkmcnt(0)
	s_delay_alu instid0(VALU_DEP_1) | instskip(SKIP_4) | instid1(VALU_DEP_1)
	v_add_f32_e32 v41, v41, v42
	v_add_f32_e32 v42, v45, v46
	ds_bpermute_b32 v43, v144, v42
	v_cndmask_b32_e64 v42, -v42, v42, s37
	s_waitcnt lgkmcnt(0)
	v_add_f32_e32 v42, v42, v43
	ds_bpermute_b32 v43, v140, v41
	v_cndmask_b32_e64 v41, -v41, v41, s35
	s_waitcnt lgkmcnt(0)
	s_delay_alu instid0(VALU_DEP_1) | instskip(SKIP_3) | instid1(VALU_DEP_1)
	v_add_f32_e32 v41, v41, v43
	ds_bpermute_b32 v43, v140, v42
	v_cndmask_b32_e64 v42, -v42, v42, s35
	s_waitcnt lgkmcnt(0)
	v_add_f32_e32 v42, v42, v43
	ds_bpermute_b32 v43, v142, v41
	v_cndmask_b32_e64 v41, -v41, v41, s36
	s_waitcnt lgkmcnt(0)
	s_delay_alu instid0(VALU_DEP_1) | instskip(SKIP_3) | instid1(VALU_DEP_1)
	;; [unrolled: 9-line block ×3, first 2 shown]
	v_add_f32_e32 v41, v41, v43
	ds_bpermute_b32 v43, v121, v42
	v_cndmask_b32_e64 v42, -v42, v42, s38
	s_waitcnt lgkmcnt(0)
	v_add_f32_e32 v42, v42, v43
	ds_bpermute_b32 v43, v122, v41
	v_cndmask_b32_e64 v41, -v41, v41, s39
	ds_bpermute_b32 v44, v122, v42
	v_cndmask_b32_e64 v42, -v42, v42, s39
	s_waitcnt lgkmcnt(1)
	v_add_f32_e32 v41, v41, v43
	ds_bpermute_b32 v43, v144, v0
	v_cndmask_b32_e64 v0, -v0, v0, s37
	s_waitcnt lgkmcnt(1)
	v_add_f32_e32 v42, v42, v44
	s_waitcnt lgkmcnt(0)
	s_delay_alu instid0(VALU_DEP_2) | instskip(SKIP_3) | instid1(VALU_DEP_1)
	v_add_f32_e32 v0, v0, v43
	ds_bpermute_b32 v43, v140, v0
	v_cndmask_b32_e64 v0, -v0, v0, s35
	s_waitcnt lgkmcnt(0)
	v_add_f32_e32 v0, v0, v43
	ds_bpermute_b32 v43, v142, v0
	v_cndmask_b32_e64 v0, -v0, v0, s36
	s_waitcnt lgkmcnt(0)
	s_delay_alu instid0(VALU_DEP_1) | instskip(SKIP_3) | instid1(VALU_DEP_1)
	v_add_f32_e32 v0, v0, v43
	ds_bpermute_b32 v43, v121, v0
	v_cndmask_b32_e64 v0, -v0, v0, s38
	s_waitcnt lgkmcnt(0)
	v_add_f32_e32 v0, v0, v43
	ds_bpermute_b32 v43, v122, v0
	v_cndmask_b32_e64 v0, -v0, v0, s39
	s_waitcnt lgkmcnt(0)
	s_delay_alu instid0(VALU_DEP_1) | instskip(SKIP_3) | instid1(VALU_DEP_1)
	v_dual_add_f32 v43, v0, v43 :: v_dual_sub_f32 v0, v45, v46
	ds_bpermute_b32 v44, v144, v0
	v_cndmask_b32_e64 v0, -v0, v0, s37
	s_waitcnt lgkmcnt(0)
	v_add_f32_e32 v0, v0, v44
	ds_bpermute_b32 v44, v140, v0
	v_cndmask_b32_e64 v0, -v0, v0, s35
	s_waitcnt lgkmcnt(0)
	s_delay_alu instid0(VALU_DEP_1) | instskip(SKIP_3) | instid1(VALU_DEP_1)
	v_add_f32_e32 v0, v0, v44
	ds_bpermute_b32 v44, v142, v0
	v_cndmask_b32_e64 v0, -v0, v0, s36
	s_waitcnt lgkmcnt(0)
	v_add_f32_e32 v0, v0, v44
	ds_bpermute_b32 v44, v121, v0
	v_cndmask_b32_e64 v0, -v0, v0, s38
	s_waitcnt lgkmcnt(0)
	s_delay_alu instid0(VALU_DEP_1) | instskip(SKIP_3) | instid1(VALU_DEP_1)
	v_add_f32_e32 v0, v0, v44
	ds_bpermute_b32 v44, v122, v0
	v_cndmask_b32_e64 v0, -v0, v0, s39
	s_waitcnt lgkmcnt(0)
	v_add_f32_e32 v44, v0, v44
	v_add_f32_e32 v0, v48, v47
	ds_bpermute_b32 v45, v144, v0
	v_cndmask_b32_e64 v0, -v0, v0, s37
	s_waitcnt lgkmcnt(0)
	s_delay_alu instid0(VALU_DEP_1) | instskip(SKIP_3) | instid1(VALU_DEP_1)
	v_dual_add_f32 v0, v0, v45 :: v_dual_add_f32 v45, v50, v51
	ds_bpermute_b32 v46, v144, v45
	v_cndmask_b32_e64 v45, -v45, v45, s37
	s_waitcnt lgkmcnt(0)
	v_add_f32_e32 v45, v45, v46
	ds_bpermute_b32 v46, v140, v0
	v_cndmask_b32_e64 v0, -v0, v0, s35
	s_waitcnt lgkmcnt(0)
	s_delay_alu instid0(VALU_DEP_1) | instskip(SKIP_3) | instid1(VALU_DEP_1)
	v_add_f32_e32 v0, v0, v46
	ds_bpermute_b32 v46, v140, v45
	v_cndmask_b32_e64 v45, -v45, v45, s35
	s_waitcnt lgkmcnt(0)
	v_add_f32_e32 v45, v45, v46
	ds_bpermute_b32 v46, v142, v0
	v_cndmask_b32_e64 v0, -v0, v0, s36
	s_waitcnt lgkmcnt(0)
	s_delay_alu instid0(VALU_DEP_1) | instskip(SKIP_3) | instid1(VALU_DEP_1)
	v_add_f32_e32 v0, v0, v46
	;; [unrolled: 9-line block ×3, first 2 shown]
	ds_bpermute_b32 v46, v121, v45
	v_cndmask_b32_e64 v45, -v45, v45, s38
	s_waitcnt lgkmcnt(0)
	v_add_f32_e32 v45, v45, v46
	ds_bpermute_b32 v46, v122, v0
	v_cndmask_b32_e64 v0, -v0, v0, s39
	ds_bpermute_b32 v49, v122, v45
	v_cndmask_b32_e64 v52, -v45, v45, s39
	s_waitcnt lgkmcnt(1)
	v_dual_add_f32 v45, v0, v46 :: v_dual_sub_f32 v0, v47, v48
	s_waitcnt lgkmcnt(0)
	s_delay_alu instid0(VALU_DEP_2) | instskip(SKIP_3) | instid1(VALU_DEP_1)
	v_add_f32_e32 v46, v52, v49
	ds_bpermute_b32 v47, v144, v0
	v_cndmask_b32_e64 v0, -v0, v0, s37
	s_waitcnt lgkmcnt(0)
	v_add_f32_e32 v0, v0, v47
	ds_bpermute_b32 v47, v140, v0
	v_cndmask_b32_e64 v0, -v0, v0, s35
	s_waitcnt lgkmcnt(0)
	s_delay_alu instid0(VALU_DEP_1) | instskip(SKIP_3) | instid1(VALU_DEP_1)
	v_add_f32_e32 v0, v0, v47
	ds_bpermute_b32 v47, v142, v0
	v_cndmask_b32_e64 v0, -v0, v0, s36
	s_waitcnt lgkmcnt(0)
	v_add_f32_e32 v0, v0, v47
	ds_bpermute_b32 v47, v121, v0
	v_cndmask_b32_e64 v0, -v0, v0, s38
	s_waitcnt lgkmcnt(0)
	s_delay_alu instid0(VALU_DEP_1) | instskip(SKIP_3) | instid1(VALU_DEP_1)
	v_add_f32_e32 v0, v0, v47
	ds_bpermute_b32 v47, v122, v0
	v_cndmask_b32_e64 v0, -v0, v0, s39
	s_waitcnt lgkmcnt(0)
	v_add_f32_e32 v47, v0, v47
	v_sub_f32_e32 v0, v50, v51
	ds_bpermute_b32 v48, v144, v0
	v_cndmask_b32_e64 v0, -v0, v0, s37
	s_waitcnt lgkmcnt(0)
	s_delay_alu instid0(VALU_DEP_1) | instskip(SKIP_3) | instid1(VALU_DEP_1)
	v_add_f32_e32 v0, v0, v48
	ds_bpermute_b32 v48, v140, v0
	v_cndmask_b32_e64 v0, -v0, v0, s35
	s_waitcnt lgkmcnt(0)
	v_add_f32_e32 v0, v0, v48
	ds_bpermute_b32 v48, v142, v0
	v_cndmask_b32_e64 v0, -v0, v0, s36
	s_waitcnt lgkmcnt(0)
	s_delay_alu instid0(VALU_DEP_1) | instskip(SKIP_3) | instid1(VALU_DEP_1)
	v_add_f32_e32 v0, v0, v48
	ds_bpermute_b32 v48, v121, v0
	v_cndmask_b32_e64 v0, -v0, v0, s38
	s_waitcnt lgkmcnt(0)
	v_add_f32_e32 v0, v0, v48
	ds_bpermute_b32 v48, v122, v0
	v_cndmask_b32_e64 v0, -v0, v0, s39
	s_waitcnt lgkmcnt(0)
	s_delay_alu instid0(VALU_DEP_1)
	v_add_f32_e32 v48, v0, v48
	ds_store_b128 v138, v[41:44] offset:16384
	ds_store_b128 v138, v[45:48] offset:20480
	v_dual_add_f32 v0, v37, v38 :: v_dual_add_f32 v41, v39, v40
	v_dual_sub_f32 v37, v37, v38 :: v_dual_sub_f32 v38, v39, v40
	v_add_f32_e32 v39, v33, v34
	v_sub_f32_e32 v42, v33, v34
	s_delay_alu instid0(VALU_DEP_4)
	v_add_f32_e32 v33, v41, v0
	v_add_f32_e32 v40, v35, v36
	v_dual_sub_f32 v43, v35, v36 :: v_dual_sub_f32 v0, v0, v41
	ds_bpermute_b32 v34, v144, v33
	v_cndmask_b32_e64 v33, -v33, v33, s37
	s_waitcnt lgkmcnt(0)
	s_delay_alu instid0(VALU_DEP_1) | instskip(SKIP_4) | instid1(VALU_DEP_1)
	v_add_f32_e32 v33, v33, v34
	v_add_f32_e32 v34, v37, v38
	ds_bpermute_b32 v35, v144, v34
	v_cndmask_b32_e64 v34, -v34, v34, s37
	s_waitcnt lgkmcnt(0)
	v_add_f32_e32 v34, v34, v35
	ds_bpermute_b32 v35, v140, v33
	v_cndmask_b32_e64 v33, -v33, v33, s35
	s_waitcnt lgkmcnt(0)
	s_delay_alu instid0(VALU_DEP_1) | instskip(SKIP_3) | instid1(VALU_DEP_1)
	v_add_f32_e32 v33, v33, v35
	ds_bpermute_b32 v35, v140, v34
	v_cndmask_b32_e64 v34, -v34, v34, s35
	s_waitcnt lgkmcnt(0)
	v_add_f32_e32 v34, v34, v35
	ds_bpermute_b32 v35, v142, v33
	v_cndmask_b32_e64 v33, -v33, v33, s36
	s_waitcnt lgkmcnt(0)
	s_delay_alu instid0(VALU_DEP_1) | instskip(SKIP_3) | instid1(VALU_DEP_1)
	;; [unrolled: 9-line block ×3, first 2 shown]
	v_add_f32_e32 v33, v33, v35
	ds_bpermute_b32 v35, v121, v34
	v_cndmask_b32_e64 v34, -v34, v34, s38
	s_waitcnt lgkmcnt(0)
	v_add_f32_e32 v34, v34, v35
	ds_bpermute_b32 v35, v122, v33
	v_cndmask_b32_e64 v33, -v33, v33, s39
	ds_bpermute_b32 v36, v122, v34
	v_cndmask_b32_e64 v34, -v34, v34, s39
	s_waitcnt lgkmcnt(1)
	v_add_f32_e32 v33, v33, v35
	ds_bpermute_b32 v35, v144, v0
	v_cndmask_b32_e64 v0, -v0, v0, s37
	s_waitcnt lgkmcnt(1)
	v_add_f32_e32 v34, v34, v36
	s_waitcnt lgkmcnt(0)
	s_delay_alu instid0(VALU_DEP_2) | instskip(SKIP_3) | instid1(VALU_DEP_1)
	v_add_f32_e32 v0, v0, v35
	ds_bpermute_b32 v35, v140, v0
	v_cndmask_b32_e64 v0, -v0, v0, s35
	s_waitcnt lgkmcnt(0)
	v_add_f32_e32 v0, v0, v35
	ds_bpermute_b32 v35, v142, v0
	v_cndmask_b32_e64 v0, -v0, v0, s36
	s_waitcnt lgkmcnt(0)
	s_delay_alu instid0(VALU_DEP_1) | instskip(SKIP_3) | instid1(VALU_DEP_1)
	v_add_f32_e32 v0, v0, v35
	ds_bpermute_b32 v35, v121, v0
	v_cndmask_b32_e64 v0, -v0, v0, s38
	s_waitcnt lgkmcnt(0)
	v_add_f32_e32 v0, v0, v35
	ds_bpermute_b32 v35, v122, v0
	v_cndmask_b32_e64 v0, -v0, v0, s39
	s_waitcnt lgkmcnt(0)
	s_delay_alu instid0(VALU_DEP_1) | instskip(SKIP_3) | instid1(VALU_DEP_1)
	v_dual_add_f32 v35, v0, v35 :: v_dual_sub_f32 v0, v37, v38
	ds_bpermute_b32 v36, v144, v0
	v_cndmask_b32_e64 v0, -v0, v0, s37
	s_waitcnt lgkmcnt(0)
	v_add_f32_e32 v0, v0, v36
	ds_bpermute_b32 v36, v140, v0
	v_cndmask_b32_e64 v0, -v0, v0, s35
	s_waitcnt lgkmcnt(0)
	s_delay_alu instid0(VALU_DEP_1) | instskip(SKIP_3) | instid1(VALU_DEP_1)
	v_add_f32_e32 v0, v0, v36
	ds_bpermute_b32 v36, v142, v0
	v_cndmask_b32_e64 v0, -v0, v0, s36
	s_waitcnt lgkmcnt(0)
	v_add_f32_e32 v0, v0, v36
	ds_bpermute_b32 v36, v121, v0
	v_cndmask_b32_e64 v0, -v0, v0, s38
	s_waitcnt lgkmcnt(0)
	s_delay_alu instid0(VALU_DEP_1) | instskip(SKIP_3) | instid1(VALU_DEP_1)
	v_add_f32_e32 v0, v0, v36
	ds_bpermute_b32 v36, v122, v0
	v_cndmask_b32_e64 v0, -v0, v0, s39
	s_waitcnt lgkmcnt(0)
	v_add_f32_e32 v36, v0, v36
	v_add_f32_e32 v0, v40, v39
	ds_bpermute_b32 v37, v144, v0
	v_cndmask_b32_e64 v0, -v0, v0, s37
	s_waitcnt lgkmcnt(0)
	s_delay_alu instid0(VALU_DEP_1) | instskip(SKIP_3) | instid1(VALU_DEP_1)
	v_dual_add_f32 v0, v0, v37 :: v_dual_add_f32 v37, v42, v43
	ds_bpermute_b32 v38, v144, v37
	v_cndmask_b32_e64 v37, -v37, v37, s37
	s_waitcnt lgkmcnt(0)
	v_add_f32_e32 v37, v37, v38
	ds_bpermute_b32 v38, v140, v0
	v_cndmask_b32_e64 v0, -v0, v0, s35
	s_waitcnt lgkmcnt(0)
	s_delay_alu instid0(VALU_DEP_1) | instskip(SKIP_3) | instid1(VALU_DEP_1)
	v_add_f32_e32 v0, v0, v38
	ds_bpermute_b32 v38, v140, v37
	v_cndmask_b32_e64 v37, -v37, v37, s35
	s_waitcnt lgkmcnt(0)
	v_add_f32_e32 v37, v37, v38
	ds_bpermute_b32 v38, v142, v0
	v_cndmask_b32_e64 v0, -v0, v0, s36
	s_waitcnt lgkmcnt(0)
	s_delay_alu instid0(VALU_DEP_1) | instskip(SKIP_3) | instid1(VALU_DEP_1)
	v_add_f32_e32 v0, v0, v38
	;; [unrolled: 9-line block ×3, first 2 shown]
	ds_bpermute_b32 v38, v121, v37
	v_cndmask_b32_e64 v37, -v37, v37, s38
	s_waitcnt lgkmcnt(0)
	v_add_f32_e32 v37, v37, v38
	ds_bpermute_b32 v38, v122, v0
	v_cndmask_b32_e64 v0, -v0, v0, s39
	ds_bpermute_b32 v41, v122, v37
	v_cndmask_b32_e64 v44, -v37, v37, s39
	s_waitcnt lgkmcnt(1)
	v_dual_add_f32 v37, v0, v38 :: v_dual_sub_f32 v0, v39, v40
	s_waitcnt lgkmcnt(0)
	s_delay_alu instid0(VALU_DEP_2) | instskip(SKIP_3) | instid1(VALU_DEP_1)
	v_add_f32_e32 v38, v44, v41
	ds_bpermute_b32 v39, v144, v0
	v_cndmask_b32_e64 v0, -v0, v0, s37
	s_waitcnt lgkmcnt(0)
	v_add_f32_e32 v0, v0, v39
	ds_bpermute_b32 v39, v140, v0
	v_cndmask_b32_e64 v0, -v0, v0, s35
	s_waitcnt lgkmcnt(0)
	s_delay_alu instid0(VALU_DEP_1) | instskip(SKIP_3) | instid1(VALU_DEP_1)
	v_add_f32_e32 v0, v0, v39
	ds_bpermute_b32 v39, v142, v0
	v_cndmask_b32_e64 v0, -v0, v0, s36
	s_waitcnt lgkmcnt(0)
	v_add_f32_e32 v0, v0, v39
	ds_bpermute_b32 v39, v121, v0
	v_cndmask_b32_e64 v0, -v0, v0, s38
	s_waitcnt lgkmcnt(0)
	s_delay_alu instid0(VALU_DEP_1) | instskip(SKIP_3) | instid1(VALU_DEP_1)
	v_add_f32_e32 v0, v0, v39
	ds_bpermute_b32 v39, v122, v0
	v_cndmask_b32_e64 v0, -v0, v0, s39
	s_waitcnt lgkmcnt(0)
	v_add_f32_e32 v39, v0, v39
	v_sub_f32_e32 v0, v42, v43
	ds_bpermute_b32 v40, v144, v0
	v_cndmask_b32_e64 v0, -v0, v0, s37
	s_waitcnt lgkmcnt(0)
	s_delay_alu instid0(VALU_DEP_1) | instskip(SKIP_3) | instid1(VALU_DEP_1)
	v_add_f32_e32 v0, v0, v40
	ds_bpermute_b32 v40, v140, v0
	v_cndmask_b32_e64 v0, -v0, v0, s35
	s_waitcnt lgkmcnt(0)
	v_add_f32_e32 v0, v0, v40
	ds_bpermute_b32 v40, v142, v0
	v_cndmask_b32_e64 v0, -v0, v0, s36
	s_waitcnt lgkmcnt(0)
	s_delay_alu instid0(VALU_DEP_1) | instskip(SKIP_3) | instid1(VALU_DEP_1)
	v_add_f32_e32 v0, v0, v40
	ds_bpermute_b32 v40, v121, v0
	v_cndmask_b32_e64 v0, -v0, v0, s38
	s_waitcnt lgkmcnt(0)
	v_add_f32_e32 v0, v0, v40
	ds_bpermute_b32 v40, v122, v0
	v_cndmask_b32_e64 v0, -v0, v0, s39
	s_waitcnt lgkmcnt(0)
	s_delay_alu instid0(VALU_DEP_1)
	v_add_f32_e32 v40, v0, v40
	ds_store_b128 v138, v[33:36] offset:24576
	ds_store_b128 v138, v[37:40] offset:28672
	v_dual_add_f32 v0, v29, v30 :: v_dual_add_f32 v33, v31, v32
	v_dual_sub_f32 v29, v29, v30 :: v_dual_sub_f32 v30, v31, v32
	v_dual_add_f32 v31, v25, v26 :: v_dual_add_f32 v32, v27, v28
	v_dual_sub_f32 v25, v25, v26 :: v_dual_sub_f32 v26, v27, v28
	s_delay_alu instid0(VALU_DEP_4)
	v_dual_add_f32 v27, v33, v0 :: v_dual_sub_f32 v0, v0, v33
	s_waitcnt lgkmcnt(0)
	s_barrier
	buffer_gl0_inv
	ds_bpermute_b32 v28, v144, v27
	v_cndmask_b32_e64 v27, -v27, v27, s37
	s_waitcnt lgkmcnt(0)
	s_delay_alu instid0(VALU_DEP_1) | instskip(SKIP_3) | instid1(VALU_DEP_1)
	v_dual_add_f32 v27, v27, v28 :: v_dual_add_f32 v28, v29, v30
	ds_bpermute_b32 v34, v144, v28
	v_cndmask_b32_e64 v28, -v28, v28, s37
	s_waitcnt lgkmcnt(0)
	v_add_f32_e32 v28, v28, v34
	ds_bpermute_b32 v34, v140, v27
	v_cndmask_b32_e64 v27, -v27, v27, s35
	s_waitcnt lgkmcnt(0)
	s_delay_alu instid0(VALU_DEP_1) | instskip(SKIP_3) | instid1(VALU_DEP_1)
	v_add_f32_e32 v27, v27, v34
	ds_bpermute_b32 v34, v140, v28
	v_cndmask_b32_e64 v28, -v28, v28, s35
	s_waitcnt lgkmcnt(0)
	v_add_f32_e32 v28, v28, v34
	ds_bpermute_b32 v34, v142, v27
	v_cndmask_b32_e64 v27, -v27, v27, s36
	s_waitcnt lgkmcnt(0)
	s_delay_alu instid0(VALU_DEP_1) | instskip(SKIP_3) | instid1(VALU_DEP_1)
	v_add_f32_e32 v27, v27, v34
	;; [unrolled: 9-line block ×3, first 2 shown]
	ds_bpermute_b32 v34, v121, v28
	v_cndmask_b32_e64 v28, -v28, v28, s38
	s_waitcnt lgkmcnt(0)
	v_add_f32_e32 v28, v28, v34
	ds_bpermute_b32 v34, v122, v27
	v_cndmask_b32_e64 v27, -v27, v27, s39
	ds_bpermute_b32 v35, v122, v28
	v_cndmask_b32_e64 v28, -v28, v28, s39
	s_waitcnt lgkmcnt(1)
	v_add_f32_e32 v123, v27, v34
	ds_bpermute_b32 v27, v144, v0
	v_cndmask_b32_e64 v0, -v0, v0, s37
	s_waitcnt lgkmcnt(1)
	v_add_f32_e32 v124, v28, v35
	s_waitcnt lgkmcnt(0)
	s_delay_alu instid0(VALU_DEP_2) | instskip(SKIP_3) | instid1(VALU_DEP_1)
	v_add_f32_e32 v0, v0, v27
	ds_bpermute_b32 v27, v140, v0
	v_cndmask_b32_e64 v0, -v0, v0, s35
	s_waitcnt lgkmcnt(0)
	v_add_f32_e32 v0, v0, v27
	ds_bpermute_b32 v27, v142, v0
	v_cndmask_b32_e64 v0, -v0, v0, s36
	s_waitcnt lgkmcnt(0)
	s_delay_alu instid0(VALU_DEP_1) | instskip(SKIP_3) | instid1(VALU_DEP_1)
	v_add_f32_e32 v0, v0, v27
	ds_bpermute_b32 v27, v121, v0
	v_cndmask_b32_e64 v0, -v0, v0, s38
	s_waitcnt lgkmcnt(0)
	v_add_f32_e32 v0, v0, v27
	ds_bpermute_b32 v27, v122, v0
	v_cndmask_b32_e64 v0, -v0, v0, s39
	s_waitcnt lgkmcnt(0)
	s_delay_alu instid0(VALU_DEP_1) | instskip(SKIP_3) | instid1(VALU_DEP_1)
	v_dual_add_f32 v125, v0, v27 :: v_dual_sub_f32 v0, v29, v30
	ds_bpermute_b32 v27, v144, v0
	v_cndmask_b32_e64 v0, -v0, v0, s37
	s_waitcnt lgkmcnt(0)
	v_add_f32_e32 v0, v0, v27
	ds_bpermute_b32 v27, v140, v0
	v_cndmask_b32_e64 v0, -v0, v0, s35
	s_waitcnt lgkmcnt(0)
	s_delay_alu instid0(VALU_DEP_1) | instskip(SKIP_3) | instid1(VALU_DEP_1)
	v_add_f32_e32 v0, v0, v27
	ds_bpermute_b32 v27, v142, v0
	v_cndmask_b32_e64 v0, -v0, v0, s36
	s_waitcnt lgkmcnt(0)
	v_add_f32_e32 v0, v0, v27
	ds_bpermute_b32 v27, v121, v0
	v_cndmask_b32_e64 v0, -v0, v0, s38
	s_waitcnt lgkmcnt(0)
	s_delay_alu instid0(VALU_DEP_1) | instskip(SKIP_3) | instid1(VALU_DEP_1)
	v_add_f32_e32 v0, v0, v27
	ds_bpermute_b32 v27, v122, v0
	v_cndmask_b32_e64 v0, -v0, v0, s39
	s_waitcnt lgkmcnt(0)
	v_add_f32_e32 v126, v0, v27
	v_add_f32_e32 v0, v32, v31
	ds_bpermute_b32 v27, v144, v0
	v_cndmask_b32_e64 v0, -v0, v0, s37
	s_waitcnt lgkmcnt(0)
	s_delay_alu instid0(VALU_DEP_1) | instskip(SKIP_3) | instid1(VALU_DEP_1)
	v_dual_add_f32 v0, v0, v27 :: v_dual_add_f32 v27, v25, v26
	ds_bpermute_b32 v28, v144, v27
	v_cndmask_b32_e64 v27, -v27, v27, s37
	s_waitcnt lgkmcnt(0)
	v_add_f32_e32 v27, v27, v28
	ds_bpermute_b32 v28, v140, v0
	v_cndmask_b32_e64 v0, -v0, v0, s35
	s_waitcnt lgkmcnt(0)
	s_delay_alu instid0(VALU_DEP_1) | instskip(SKIP_3) | instid1(VALU_DEP_1)
	v_add_f32_e32 v0, v0, v28
	ds_bpermute_b32 v28, v140, v27
	v_cndmask_b32_e64 v27, -v27, v27, s35
	s_waitcnt lgkmcnt(0)
	v_add_f32_e32 v27, v27, v28
	ds_bpermute_b32 v28, v142, v0
	v_cndmask_b32_e64 v0, -v0, v0, s36
	s_waitcnt lgkmcnt(0)
	s_delay_alu instid0(VALU_DEP_1) | instskip(SKIP_3) | instid1(VALU_DEP_1)
	v_add_f32_e32 v0, v0, v28
	;; [unrolled: 9-line block ×3, first 2 shown]
	ds_bpermute_b32 v28, v121, v27
	v_cndmask_b32_e64 v27, -v27, v27, s38
	s_waitcnt lgkmcnt(0)
	v_add_f32_e32 v27, v27, v28
	ds_bpermute_b32 v28, v122, v0
	v_cndmask_b32_e64 v0, -v0, v0, s39
	ds_bpermute_b32 v29, v122, v27
	v_cndmask_b32_e64 v27, -v27, v27, s39
	s_waitcnt lgkmcnt(1)
	v_add_f32_e32 v127, v0, v28
	v_sub_f32_e32 v0, v31, v32
	s_waitcnt lgkmcnt(0)
	v_add_f32_e32 v128, v27, v29
	ds_bpermute_b32 v27, v144, v0
	v_cndmask_b32_e64 v0, -v0, v0, s37
	s_waitcnt lgkmcnt(0)
	s_delay_alu instid0(VALU_DEP_1) | instskip(SKIP_3) | instid1(VALU_DEP_1)
	v_add_f32_e32 v0, v0, v27
	ds_bpermute_b32 v27, v140, v0
	v_cndmask_b32_e64 v0, -v0, v0, s35
	s_waitcnt lgkmcnt(0)
	v_add_f32_e32 v0, v0, v27
	ds_bpermute_b32 v27, v142, v0
	v_cndmask_b32_e64 v0, -v0, v0, s36
	s_waitcnt lgkmcnt(0)
	s_delay_alu instid0(VALU_DEP_1) | instskip(SKIP_3) | instid1(VALU_DEP_1)
	v_add_f32_e32 v0, v0, v27
	ds_bpermute_b32 v27, v121, v0
	v_cndmask_b32_e64 v0, -v0, v0, s38
	s_waitcnt lgkmcnt(0)
	v_add_f32_e32 v0, v0, v27
	ds_bpermute_b32 v27, v122, v0
	v_cndmask_b32_e64 v0, -v0, v0, s39
	s_waitcnt lgkmcnt(0)
	s_delay_alu instid0(VALU_DEP_1) | instskip(SKIP_3) | instid1(VALU_DEP_1)
	v_dual_add_f32 v129, v0, v27 :: v_dual_sub_f32 v0, v25, v26
	ds_bpermute_b32 v25, v144, v0
	v_cndmask_b32_e64 v0, -v0, v0, s37
	s_waitcnt lgkmcnt(0)
	v_add_f32_e32 v0, v0, v25
	ds_bpermute_b32 v25, v140, v0
	v_cndmask_b32_e64 v0, -v0, v0, s35
	s_waitcnt lgkmcnt(0)
	s_delay_alu instid0(VALU_DEP_1) | instskip(SKIP_3) | instid1(VALU_DEP_1)
	v_add_f32_e32 v0, v0, v25
	ds_bpermute_b32 v25, v142, v0
	v_cndmask_b32_e64 v0, -v0, v0, s36
	s_waitcnt lgkmcnt(0)
	v_add_f32_e32 v0, v0, v25
	ds_bpermute_b32 v25, v121, v0
	v_cndmask_b32_e64 v0, -v0, v0, s38
	s_waitcnt lgkmcnt(0)
	s_delay_alu instid0(VALU_DEP_1) | instskip(SKIP_3) | instid1(VALU_DEP_1)
	v_add_f32_e32 v0, v0, v25
	ds_bpermute_b32 v25, v122, v0
	v_cndmask_b32_e64 v0, -v0, v0, s39
	s_waitcnt lgkmcnt(0)
	v_add_f32_e32 v130, v0, v25
	ds_load_b128 v[53:56], v146
	ds_load_b128 v[49:52], v146 offset:4096
	ds_load_b128 v[45:48], v146 offset:8192
	;; [unrolled: 1-line block ×7, first 2 shown]
	s_waitcnt lgkmcnt(0)
	s_barrier
	buffer_gl0_inv
	ds_store_b128 v138, v[123:126]
	ds_store_b128 v138, v[127:130] offset:4096
	v_dual_add_f32 v0, v21, v22 :: v_dual_add_f32 v123, v23, v24
	v_dual_sub_f32 v21, v21, v22 :: v_dual_sub_f32 v22, v23, v24
	v_add_f32_e32 v23, v17, v18
	s_delay_alu instid0(VALU_DEP_3)
	v_dual_sub_f32 v124, v17, v18 :: v_dual_add_f32 v17, v123, v0
	v_add_f32_e32 v24, v19, v20
	v_dual_sub_f32 v125, v19, v20 :: v_dual_sub_f32 v0, v0, v123
	ds_bpermute_b32 v18, v144, v17
	v_cndmask_b32_e64 v17, -v17, v17, s37
	s_waitcnt lgkmcnt(0)
	s_delay_alu instid0(VALU_DEP_1) | instskip(SKIP_4) | instid1(VALU_DEP_1)
	v_add_f32_e32 v17, v17, v18
	v_add_f32_e32 v18, v21, v22
	ds_bpermute_b32 v19, v144, v18
	v_cndmask_b32_e64 v18, -v18, v18, s37
	s_waitcnt lgkmcnt(0)
	v_add_f32_e32 v18, v18, v19
	ds_bpermute_b32 v19, v140, v17
	v_cndmask_b32_e64 v17, -v17, v17, s35
	s_waitcnt lgkmcnt(0)
	s_delay_alu instid0(VALU_DEP_1) | instskip(SKIP_3) | instid1(VALU_DEP_1)
	v_add_f32_e32 v17, v17, v19
	ds_bpermute_b32 v19, v140, v18
	v_cndmask_b32_e64 v18, -v18, v18, s35
	s_waitcnt lgkmcnt(0)
	v_add_f32_e32 v18, v18, v19
	ds_bpermute_b32 v19, v142, v17
	v_cndmask_b32_e64 v17, -v17, v17, s36
	s_waitcnt lgkmcnt(0)
	s_delay_alu instid0(VALU_DEP_1) | instskip(SKIP_3) | instid1(VALU_DEP_1)
	v_add_f32_e32 v17, v17, v19
	ds_bpermute_b32 v19, v142, v18
	v_cndmask_b32_e64 v18, -v18, v18, s36
	s_waitcnt lgkmcnt(0)
	v_add_f32_e32 v18, v18, v19
	ds_bpermute_b32 v19, v121, v17
	v_cndmask_b32_e64 v17, -v17, v17, s38
	s_waitcnt lgkmcnt(0)
	s_delay_alu instid0(VALU_DEP_1) | instskip(SKIP_3) | instid1(VALU_DEP_1)
	v_add_f32_e32 v17, v17, v19
	ds_bpermute_b32 v19, v121, v18
	v_cndmask_b32_e64 v18, -v18, v18, s38
	s_waitcnt lgkmcnt(0)
	v_add_f32_e32 v18, v18, v19
	ds_bpermute_b32 v19, v122, v17
	v_cndmask_b32_e64 v17, -v17, v17, s39
	ds_bpermute_b32 v20, v122, v18
	v_cndmask_b32_e64 v18, -v18, v18, s39
	s_waitcnt lgkmcnt(1)
	v_add_f32_e32 v17, v17, v19
	ds_bpermute_b32 v19, v144, v0
	v_cndmask_b32_e64 v0, -v0, v0, s37
	s_waitcnt lgkmcnt(1)
	v_add_f32_e32 v18, v18, v20
	s_waitcnt lgkmcnt(0)
	s_delay_alu instid0(VALU_DEP_2) | instskip(SKIP_3) | instid1(VALU_DEP_1)
	v_add_f32_e32 v0, v0, v19
	ds_bpermute_b32 v19, v140, v0
	v_cndmask_b32_e64 v0, -v0, v0, s35
	s_waitcnt lgkmcnt(0)
	v_add_f32_e32 v0, v0, v19
	ds_bpermute_b32 v19, v142, v0
	v_cndmask_b32_e64 v0, -v0, v0, s36
	s_waitcnt lgkmcnt(0)
	s_delay_alu instid0(VALU_DEP_1) | instskip(SKIP_3) | instid1(VALU_DEP_1)
	v_add_f32_e32 v0, v0, v19
	ds_bpermute_b32 v19, v121, v0
	v_cndmask_b32_e64 v0, -v0, v0, s38
	s_waitcnt lgkmcnt(0)
	v_add_f32_e32 v0, v0, v19
	ds_bpermute_b32 v19, v122, v0
	v_cndmask_b32_e64 v0, -v0, v0, s39
	s_waitcnt lgkmcnt(0)
	s_delay_alu instid0(VALU_DEP_1) | instskip(SKIP_3) | instid1(VALU_DEP_1)
	v_dual_add_f32 v19, v0, v19 :: v_dual_sub_f32 v0, v21, v22
	ds_bpermute_b32 v20, v144, v0
	v_cndmask_b32_e64 v0, -v0, v0, s37
	s_waitcnt lgkmcnt(0)
	v_add_f32_e32 v0, v0, v20
	ds_bpermute_b32 v20, v140, v0
	v_cndmask_b32_e64 v0, -v0, v0, s35
	s_waitcnt lgkmcnt(0)
	s_delay_alu instid0(VALU_DEP_1) | instskip(SKIP_3) | instid1(VALU_DEP_1)
	v_add_f32_e32 v0, v0, v20
	ds_bpermute_b32 v20, v142, v0
	v_cndmask_b32_e64 v0, -v0, v0, s36
	s_waitcnt lgkmcnt(0)
	v_add_f32_e32 v0, v0, v20
	ds_bpermute_b32 v20, v121, v0
	v_cndmask_b32_e64 v0, -v0, v0, s38
	s_waitcnt lgkmcnt(0)
	s_delay_alu instid0(VALU_DEP_1) | instskip(SKIP_3) | instid1(VALU_DEP_1)
	v_add_f32_e32 v0, v0, v20
	ds_bpermute_b32 v20, v122, v0
	v_cndmask_b32_e64 v0, -v0, v0, s39
	s_waitcnt lgkmcnt(0)
	v_add_f32_e32 v20, v0, v20
	v_add_f32_e32 v0, v24, v23
	ds_bpermute_b32 v21, v144, v0
	v_cndmask_b32_e64 v0, -v0, v0, s37
	s_waitcnt lgkmcnt(0)
	s_delay_alu instid0(VALU_DEP_1) | instskip(SKIP_4) | instid1(VALU_DEP_1)
	v_add_f32_e32 v0, v0, v21
	v_add_f32_e32 v21, v124, v125
	ds_bpermute_b32 v22, v144, v21
	v_cndmask_b32_e64 v21, -v21, v21, s37
	s_waitcnt lgkmcnt(0)
	v_add_f32_e32 v21, v21, v22
	ds_bpermute_b32 v22, v140, v0
	v_cndmask_b32_e64 v0, -v0, v0, s35
	s_waitcnt lgkmcnt(0)
	s_delay_alu instid0(VALU_DEP_1) | instskip(SKIP_3) | instid1(VALU_DEP_1)
	v_add_f32_e32 v0, v0, v22
	ds_bpermute_b32 v22, v140, v21
	v_cndmask_b32_e64 v21, -v21, v21, s35
	s_waitcnt lgkmcnt(0)
	v_add_f32_e32 v21, v21, v22
	ds_bpermute_b32 v22, v142, v0
	v_cndmask_b32_e64 v0, -v0, v0, s36
	s_waitcnt lgkmcnt(0)
	s_delay_alu instid0(VALU_DEP_1) | instskip(SKIP_3) | instid1(VALU_DEP_1)
	;; [unrolled: 9-line block ×3, first 2 shown]
	v_add_f32_e32 v0, v0, v22
	ds_bpermute_b32 v22, v121, v21
	v_cndmask_b32_e64 v21, -v21, v21, s38
	s_waitcnt lgkmcnt(0)
	v_add_f32_e32 v21, v21, v22
	ds_bpermute_b32 v22, v122, v0
	v_cndmask_b32_e64 v0, -v0, v0, s39
	ds_bpermute_b32 v123, v122, v21
	v_cndmask_b32_e64 v126, -v21, v21, s39
	s_waitcnt lgkmcnt(1)
	v_dual_add_f32 v21, v0, v22 :: v_dual_sub_f32 v0, v23, v24
	s_waitcnt lgkmcnt(0)
	s_delay_alu instid0(VALU_DEP_2) | instskip(SKIP_3) | instid1(VALU_DEP_1)
	v_add_f32_e32 v22, v126, v123
	ds_bpermute_b32 v23, v144, v0
	v_cndmask_b32_e64 v0, -v0, v0, s37
	s_waitcnt lgkmcnt(0)
	v_add_f32_e32 v0, v0, v23
	ds_bpermute_b32 v23, v140, v0
	v_cndmask_b32_e64 v0, -v0, v0, s35
	s_waitcnt lgkmcnt(0)
	s_delay_alu instid0(VALU_DEP_1) | instskip(SKIP_3) | instid1(VALU_DEP_1)
	v_add_f32_e32 v0, v0, v23
	ds_bpermute_b32 v23, v142, v0
	v_cndmask_b32_e64 v0, -v0, v0, s36
	s_waitcnt lgkmcnt(0)
	v_add_f32_e32 v0, v0, v23
	ds_bpermute_b32 v23, v121, v0
	v_cndmask_b32_e64 v0, -v0, v0, s38
	s_waitcnt lgkmcnt(0)
	s_delay_alu instid0(VALU_DEP_1) | instskip(SKIP_3) | instid1(VALU_DEP_1)
	v_add_f32_e32 v0, v0, v23
	ds_bpermute_b32 v23, v122, v0
	v_cndmask_b32_e64 v0, -v0, v0, s39
	s_waitcnt lgkmcnt(0)
	v_add_f32_e32 v23, v0, v23
	v_sub_f32_e32 v0, v124, v125
	ds_bpermute_b32 v24, v144, v0
	v_cndmask_b32_e64 v0, -v0, v0, s37
	s_waitcnt lgkmcnt(0)
	s_delay_alu instid0(VALU_DEP_1) | instskip(SKIP_3) | instid1(VALU_DEP_1)
	v_add_f32_e32 v0, v0, v24
	ds_bpermute_b32 v24, v140, v0
	v_cndmask_b32_e64 v0, -v0, v0, s35
	s_waitcnt lgkmcnt(0)
	v_add_f32_e32 v0, v0, v24
	ds_bpermute_b32 v24, v142, v0
	v_cndmask_b32_e64 v0, -v0, v0, s36
	s_waitcnt lgkmcnt(0)
	s_delay_alu instid0(VALU_DEP_1) | instskip(SKIP_3) | instid1(VALU_DEP_1)
	v_add_f32_e32 v0, v0, v24
	ds_bpermute_b32 v24, v121, v0
	v_cndmask_b32_e64 v0, -v0, v0, s38
	s_waitcnt lgkmcnt(0)
	v_add_f32_e32 v0, v0, v24
	ds_bpermute_b32 v24, v122, v0
	v_cndmask_b32_e64 v0, -v0, v0, s39
	s_waitcnt lgkmcnt(0)
	s_delay_alu instid0(VALU_DEP_1)
	v_add_f32_e32 v24, v0, v24
	ds_store_b128 v138, v[17:20] offset:8192
	ds_store_b128 v138, v[21:24] offset:12288
	v_dual_add_f32 v0, v13, v14 :: v_dual_add_f32 v17, v15, v16
	v_dual_sub_f32 v13, v13, v14 :: v_dual_sub_f32 v14, v15, v16
	v_add_f32_e32 v15, v9, v10
	v_sub_f32_e32 v18, v9, v10
	s_delay_alu instid0(VALU_DEP_4)
	v_add_f32_e32 v9, v17, v0
	v_add_f32_e32 v16, v11, v12
	v_dual_sub_f32 v19, v11, v12 :: v_dual_sub_f32 v0, v0, v17
	v_cndmask_b32_e64 v22, -v107, v107, s37
	ds_bpermute_b32 v10, v144, v9
	v_cndmask_b32_e64 v9, -v9, v9, s37
	ds_bpermute_b32 v21, v144, v108
	;; [unrolled: 2-line block ×3, first 2 shown]
	v_cndmask_b32_e64 v77, -v77, v77, s37
	s_waitcnt lgkmcnt(2)
	v_add_f32_e32 v9, v9, v10
	v_add_f32_e32 v10, v13, v14
	s_waitcnt lgkmcnt(0)
	v_add_f32_e32 v24, v77, v24
	ds_bpermute_b32 v11, v144, v10
	v_cndmask_b32_e64 v10, -v10, v10, s37
	s_waitcnt lgkmcnt(0)
	s_delay_alu instid0(VALU_DEP_1) | instskip(SKIP_3) | instid1(VALU_DEP_1)
	v_add_f32_e32 v10, v10, v11
	ds_bpermute_b32 v11, v140, v9
	v_cndmask_b32_e64 v9, -v9, v9, s35
	s_waitcnt lgkmcnt(0)
	v_add_f32_e32 v9, v9, v11
	ds_bpermute_b32 v11, v140, v10
	v_cndmask_b32_e64 v10, -v10, v10, s35
	s_waitcnt lgkmcnt(0)
	s_delay_alu instid0(VALU_DEP_1) | instskip(SKIP_3) | instid1(VALU_DEP_1)
	v_add_f32_e32 v10, v10, v11
	ds_bpermute_b32 v11, v142, v9
	v_cndmask_b32_e64 v9, -v9, v9, s36
	;; [unrolled: 9-line block ×3, first 2 shown]
	s_waitcnt lgkmcnt(0)
	v_add_f32_e32 v9, v9, v11
	ds_bpermute_b32 v11, v121, v10
	v_cndmask_b32_e64 v10, -v10, v10, s38
	s_waitcnt lgkmcnt(0)
	s_delay_alu instid0(VALU_DEP_1)
	v_add_f32_e32 v10, v10, v11
	ds_bpermute_b32 v11, v122, v9
	v_cndmask_b32_e64 v9, -v9, v9, s39
	ds_bpermute_b32 v12, v122, v10
	v_cndmask_b32_e64 v10, -v10, v10, s39
	s_waitcnt lgkmcnt(1)
	v_add_f32_e32 v9, v9, v11
	ds_bpermute_b32 v11, v144, v0
	v_cndmask_b32_e64 v0, -v0, v0, s37
	s_waitcnt lgkmcnt(1)
	v_add_f32_e32 v10, v10, v12
	s_waitcnt lgkmcnt(0)
	s_delay_alu instid0(VALU_DEP_2) | instskip(SKIP_3) | instid1(VALU_DEP_1)
	v_add_f32_e32 v0, v0, v11
	ds_bpermute_b32 v11, v140, v0
	v_cndmask_b32_e64 v0, -v0, v0, s35
	s_waitcnt lgkmcnt(0)
	v_add_f32_e32 v0, v0, v11
	ds_bpermute_b32 v11, v142, v0
	v_cndmask_b32_e64 v0, -v0, v0, s36
	s_waitcnt lgkmcnt(0)
	s_delay_alu instid0(VALU_DEP_1) | instskip(SKIP_3) | instid1(VALU_DEP_1)
	v_add_f32_e32 v0, v0, v11
	ds_bpermute_b32 v11, v121, v0
	v_cndmask_b32_e64 v0, -v0, v0, s38
	s_waitcnt lgkmcnt(0)
	v_add_f32_e32 v0, v0, v11
	ds_bpermute_b32 v11, v122, v0
	v_cndmask_b32_e64 v0, -v0, v0, s39
	s_waitcnt lgkmcnt(0)
	s_delay_alu instid0(VALU_DEP_1) | instskip(SKIP_3) | instid1(VALU_DEP_1)
	v_dual_add_f32 v11, v0, v11 :: v_dual_sub_f32 v0, v13, v14
	ds_bpermute_b32 v12, v144, v0
	v_cndmask_b32_e64 v0, -v0, v0, s37
	s_waitcnt lgkmcnt(0)
	v_add_f32_e32 v0, v0, v12
	ds_bpermute_b32 v12, v140, v0
	v_cndmask_b32_e64 v0, -v0, v0, s35
	s_waitcnt lgkmcnt(0)
	s_delay_alu instid0(VALU_DEP_1) | instskip(SKIP_3) | instid1(VALU_DEP_1)
	v_add_f32_e32 v0, v0, v12
	ds_bpermute_b32 v12, v142, v0
	v_cndmask_b32_e64 v0, -v0, v0, s36
	s_waitcnt lgkmcnt(0)
	v_add_f32_e32 v0, v0, v12
	ds_bpermute_b32 v12, v121, v0
	v_cndmask_b32_e64 v0, -v0, v0, s38
	s_waitcnt lgkmcnt(0)
	s_delay_alu instid0(VALU_DEP_1) | instskip(SKIP_3) | instid1(VALU_DEP_1)
	v_add_f32_e32 v0, v0, v12
	ds_bpermute_b32 v12, v122, v0
	v_cndmask_b32_e64 v0, -v0, v0, s39
	s_waitcnt lgkmcnt(0)
	v_add_f32_e32 v12, v0, v12
	v_add_f32_e32 v0, v16, v15
	ds_bpermute_b32 v13, v144, v0
	v_cndmask_b32_e64 v0, -v0, v0, s37
	s_waitcnt lgkmcnt(0)
	s_delay_alu instid0(VALU_DEP_1) | instskip(SKIP_3) | instid1(VALU_DEP_1)
	v_dual_add_f32 v0, v0, v13 :: v_dual_add_f32 v13, v18, v19
	ds_bpermute_b32 v14, v144, v13
	v_cndmask_b32_e64 v13, -v13, v13, s37
	s_waitcnt lgkmcnt(0)
	v_add_f32_e32 v13, v13, v14
	ds_bpermute_b32 v14, v140, v0
	v_cndmask_b32_e64 v0, -v0, v0, s35
	s_waitcnt lgkmcnt(0)
	s_delay_alu instid0(VALU_DEP_1) | instskip(SKIP_3) | instid1(VALU_DEP_1)
	v_add_f32_e32 v0, v0, v14
	ds_bpermute_b32 v14, v140, v13
	v_cndmask_b32_e64 v13, -v13, v13, s35
	s_waitcnt lgkmcnt(0)
	v_add_f32_e32 v13, v13, v14
	ds_bpermute_b32 v14, v142, v0
	v_cndmask_b32_e64 v0, -v0, v0, s36
	s_waitcnt lgkmcnt(0)
	s_delay_alu instid0(VALU_DEP_1) | instskip(SKIP_3) | instid1(VALU_DEP_1)
	v_add_f32_e32 v0, v0, v14
	;; [unrolled: 9-line block ×3, first 2 shown]
	ds_bpermute_b32 v14, v121, v13
	v_cndmask_b32_e64 v13, -v13, v13, s38
	s_waitcnt lgkmcnt(0)
	v_add_f32_e32 v13, v13, v14
	ds_bpermute_b32 v14, v122, v0
	v_cndmask_b32_e64 v0, -v0, v0, s39
	ds_bpermute_b32 v17, v122, v13
	v_cndmask_b32_e64 v20, -v13, v13, s39
	s_waitcnt lgkmcnt(1)
	v_dual_add_f32 v13, v0, v14 :: v_dual_sub_f32 v0, v15, v16
	s_waitcnt lgkmcnt(0)
	s_delay_alu instid0(VALU_DEP_2)
	v_add_f32_e32 v14, v20, v17
	v_cndmask_b32_e64 v17, -v114, v114, s37
	ds_bpermute_b32 v15, v144, v0
	v_cndmask_b32_e64 v0, -v0, v0, s37
	ds_bpermute_b32 v20, v144, v107
	v_cndmask_b32_e64 v107, -v76, v76, s37
	s_waitcnt lgkmcnt(1)
	v_add_f32_e32 v0, v0, v15
	ds_bpermute_b32 v15, v140, v0
	v_cndmask_b32_e64 v0, -v0, v0, s35
	s_waitcnt lgkmcnt(0)
	s_delay_alu instid0(VALU_DEP_1) | instskip(SKIP_3) | instid1(VALU_DEP_1)
	v_add_f32_e32 v0, v0, v15
	ds_bpermute_b32 v15, v142, v0
	v_cndmask_b32_e64 v0, -v0, v0, s36
	s_waitcnt lgkmcnt(0)
	v_add_f32_e32 v0, v0, v15
	ds_bpermute_b32 v15, v121, v0
	v_cndmask_b32_e64 v0, -v0, v0, s38
	s_waitcnt lgkmcnt(0)
	s_delay_alu instid0(VALU_DEP_1) | instskip(SKIP_3) | instid1(VALU_DEP_1)
	v_add_f32_e32 v0, v0, v15
	ds_bpermute_b32 v15, v122, v0
	v_cndmask_b32_e64 v0, -v0, v0, s39
	s_waitcnt lgkmcnt(0)
	v_add_f32_e32 v15, v0, v15
	v_sub_f32_e32 v0, v18, v19
	v_cndmask_b32_e64 v18, -v115, v115, s37
	v_cndmask_b32_e64 v19, -v116, v116, s37
	ds_bpermute_b32 v16, v144, v0
	v_cndmask_b32_e64 v0, -v0, v0, s37
	s_waitcnt lgkmcnt(0)
	s_delay_alu instid0(VALU_DEP_1) | instskip(SKIP_3) | instid1(VALU_DEP_1)
	v_add_f32_e32 v0, v0, v16
	ds_bpermute_b32 v16, v140, v0
	v_cndmask_b32_e64 v0, -v0, v0, s35
	s_waitcnt lgkmcnt(0)
	v_add_f32_e32 v0, v0, v16
	ds_bpermute_b32 v16, v142, v0
	v_cndmask_b32_e64 v0, -v0, v0, s36
	s_waitcnt lgkmcnt(0)
	s_delay_alu instid0(VALU_DEP_1) | instskip(SKIP_3) | instid1(VALU_DEP_1)
	v_add_f32_e32 v0, v0, v16
	ds_bpermute_b32 v16, v121, v0
	v_cndmask_b32_e64 v0, -v0, v0, s38
	s_waitcnt lgkmcnt(0)
	v_add_f32_e32 v0, v0, v16
	ds_bpermute_b32 v16, v122, v0
	v_cndmask_b32_e64 v0, -v0, v0, s39
	s_waitcnt lgkmcnt(0)
	s_delay_alu instid0(VALU_DEP_1)
	v_add_f32_e32 v16, v0, v16
	ds_store_b128 v138, v[9:12] offset:16384
	ds_store_b128 v138, v[13:16] offset:20480
	v_dual_add_f32 v9, v5, v6 :: v_dual_add_f32 v10, v7, v8
	v_dual_sub_f32 v5, v5, v6 :: v_dual_sub_f32 v6, v7, v8
	v_add_f32_e32 v7, v1, v2
	s_delay_alu instid0(VALU_DEP_3)
	v_dual_sub_f32 v11, v1, v2 :: v_dual_add_f32 v0, v10, v9
	v_add_f32_e32 v8, v3, v4
	v_sub_f32_e32 v12, v3, v4
	v_cndmask_b32_e64 v15, -v113, v113, s37
	ds_bpermute_b32 v13, v144, v114
	ds_bpermute_b32 v1, v144, v0
	v_cndmask_b32_e64 v0, -v0, v0, s37
	ds_bpermute_b32 v14, v144, v115
	ds_bpermute_b32 v16, v144, v116
	s_waitcnt lgkmcnt(2)
	v_dual_add_f32 v0, v0, v1 :: v_dual_add_f32 v1, v5, v6
	ds_bpermute_b32 v2, v144, v1
	v_cndmask_b32_e64 v1, -v1, v1, s37
	s_waitcnt lgkmcnt(0)
	s_delay_alu instid0(VALU_DEP_1) | instskip(SKIP_3) | instid1(VALU_DEP_1)
	v_add_f32_e32 v1, v1, v2
	ds_bpermute_b32 v2, v140, v0
	v_cndmask_b32_e64 v0, -v0, v0, s35
	s_waitcnt lgkmcnt(0)
	v_add_f32_e32 v0, v0, v2
	ds_bpermute_b32 v2, v140, v1
	v_cndmask_b32_e64 v1, -v1, v1, s35
	s_waitcnt lgkmcnt(0)
	s_delay_alu instid0(VALU_DEP_1) | instskip(SKIP_3) | instid1(VALU_DEP_1)
	v_add_f32_e32 v1, v1, v2
	ds_bpermute_b32 v2, v142, v0
	v_cndmask_b32_e64 v0, -v0, v0, s36
	s_waitcnt lgkmcnt(0)
	v_add_f32_e32 v0, v0, v2
	ds_bpermute_b32 v2, v142, v1
	v_cndmask_b32_e64 v1, -v1, v1, s36
	s_waitcnt lgkmcnt(0)
	s_delay_alu instid0(VALU_DEP_1) | instskip(SKIP_3) | instid1(VALU_DEP_1)
	v_add_f32_e32 v1, v1, v2
	ds_bpermute_b32 v2, v121, v0
	v_cndmask_b32_e64 v0, -v0, v0, s38
	s_waitcnt lgkmcnt(0)
	v_add_f32_e32 v0, v0, v2
	ds_bpermute_b32 v2, v121, v1
	v_cndmask_b32_e64 v1, -v1, v1, s38
	s_waitcnt lgkmcnt(0)
	s_delay_alu instid0(VALU_DEP_1)
	v_add_f32_e32 v1, v1, v2
	ds_bpermute_b32 v2, v122, v0
	v_cndmask_b32_e64 v0, -v0, v0, s39
	ds_bpermute_b32 v3, v122, v1
	v_cndmask_b32_e64 v1, -v1, v1, s39
	s_waitcnt lgkmcnt(1)
	v_add_f32_e32 v0, v0, v2
	v_sub_f32_e32 v2, v9, v10
	s_waitcnt lgkmcnt(0)
	v_add_f32_e32 v1, v1, v3
	ds_bpermute_b32 v3, v144, v2
	v_cndmask_b32_e64 v2, -v2, v2, s37
	s_waitcnt lgkmcnt(0)
	s_delay_alu instid0(VALU_DEP_1) | instskip(SKIP_3) | instid1(VALU_DEP_1)
	v_add_f32_e32 v2, v2, v3
	ds_bpermute_b32 v3, v140, v2
	v_cndmask_b32_e64 v2, -v2, v2, s35
	s_waitcnt lgkmcnt(0)
	v_add_f32_e32 v2, v2, v3
	ds_bpermute_b32 v3, v142, v2
	v_cndmask_b32_e64 v2, -v2, v2, s36
	s_waitcnt lgkmcnt(0)
	s_delay_alu instid0(VALU_DEP_1) | instskip(SKIP_3) | instid1(VALU_DEP_1)
	v_add_f32_e32 v2, v2, v3
	ds_bpermute_b32 v3, v121, v2
	v_cndmask_b32_e64 v2, -v2, v2, s38
	s_waitcnt lgkmcnt(0)
	v_add_f32_e32 v2, v2, v3
	ds_bpermute_b32 v3, v122, v2
	v_cndmask_b32_e64 v2, -v2, v2, s39
	s_waitcnt lgkmcnt(0)
	s_delay_alu instid0(VALU_DEP_1) | instskip(SKIP_3) | instid1(VALU_DEP_1)
	v_dual_add_f32 v2, v2, v3 :: v_dual_sub_f32 v3, v5, v6
	ds_bpermute_b32 v4, v144, v3
	v_cndmask_b32_e64 v3, -v3, v3, s37
	s_waitcnt lgkmcnt(0)
	v_add_f32_e32 v3, v3, v4
	ds_bpermute_b32 v4, v140, v3
	v_cndmask_b32_e64 v3, -v3, v3, s35
	s_waitcnt lgkmcnt(0)
	s_delay_alu instid0(VALU_DEP_1) | instskip(SKIP_3) | instid1(VALU_DEP_1)
	v_add_f32_e32 v3, v3, v4
	ds_bpermute_b32 v4, v142, v3
	v_cndmask_b32_e64 v3, -v3, v3, s36
	s_waitcnt lgkmcnt(0)
	v_add_f32_e32 v3, v3, v4
	ds_bpermute_b32 v4, v121, v3
	v_cndmask_b32_e64 v3, -v3, v3, s38
	s_waitcnt lgkmcnt(0)
	s_delay_alu instid0(VALU_DEP_1) | instskip(SKIP_3) | instid1(VALU_DEP_1)
	v_add_f32_e32 v3, v3, v4
	ds_bpermute_b32 v4, v122, v3
	v_cndmask_b32_e64 v3, -v3, v3, s39
	s_waitcnt lgkmcnt(0)
	v_dual_add_f32 v3, v3, v4 :: v_dual_add_f32 v4, v8, v7
	ds_bpermute_b32 v5, v144, v4
	v_cndmask_b32_e64 v4, -v4, v4, s37
	s_waitcnt lgkmcnt(0)
	s_delay_alu instid0(VALU_DEP_1) | instskip(SKIP_3) | instid1(VALU_DEP_1)
	v_dual_add_f32 v4, v4, v5 :: v_dual_add_f32 v5, v11, v12
	ds_bpermute_b32 v6, v144, v5
	v_cndmask_b32_e64 v5, -v5, v5, s37
	s_waitcnt lgkmcnt(0)
	v_add_f32_e32 v5, v5, v6
	ds_bpermute_b32 v6, v140, v4
	v_cndmask_b32_e64 v4, -v4, v4, s35
	s_waitcnt lgkmcnt(0)
	s_delay_alu instid0(VALU_DEP_1) | instskip(SKIP_3) | instid1(VALU_DEP_1)
	v_add_f32_e32 v4, v4, v6
	ds_bpermute_b32 v6, v140, v5
	v_cndmask_b32_e64 v5, -v5, v5, s35
	s_waitcnt lgkmcnt(0)
	v_add_f32_e32 v5, v5, v6
	ds_bpermute_b32 v6, v142, v4
	v_cndmask_b32_e64 v4, -v4, v4, s36
	s_waitcnt lgkmcnt(0)
	s_delay_alu instid0(VALU_DEP_1) | instskip(SKIP_3) | instid1(VALU_DEP_1)
	v_add_f32_e32 v4, v4, v6
	;; [unrolled: 9-line block ×3, first 2 shown]
	ds_bpermute_b32 v6, v121, v5
	v_cndmask_b32_e64 v5, -v5, v5, s38
	s_waitcnt lgkmcnt(0)
	v_add_f32_e32 v5, v5, v6
	ds_bpermute_b32 v6, v122, v4
	v_cndmask_b32_e64 v4, -v4, v4, s39
	ds_bpermute_b32 v9, v122, v5
	v_cndmask_b32_e64 v5, -v5, v5, s39
	s_waitcnt lgkmcnt(1)
	v_add_f32_e32 v4, v4, v6
	s_waitcnt lgkmcnt(0)
	s_delay_alu instid0(VALU_DEP_2) | instskip(SKIP_3) | instid1(VALU_DEP_1)
	v_dual_sub_f32 v6, v7, v8 :: v_dual_add_f32 v5, v5, v9
	ds_bpermute_b32 v7, v144, v6
	v_cndmask_b32_e64 v6, -v6, v6, s37
	s_waitcnt lgkmcnt(0)
	v_add_f32_e32 v6, v6, v7
	ds_bpermute_b32 v7, v140, v6
	v_cndmask_b32_e64 v6, -v6, v6, s35
	s_waitcnt lgkmcnt(0)
	s_delay_alu instid0(VALU_DEP_1) | instskip(SKIP_3) | instid1(VALU_DEP_1)
	v_add_f32_e32 v6, v6, v7
	ds_bpermute_b32 v7, v142, v6
	v_cndmask_b32_e64 v6, -v6, v6, s36
	s_waitcnt lgkmcnt(0)
	v_add_f32_e32 v6, v6, v7
	ds_bpermute_b32 v7, v121, v6
	v_cndmask_b32_e64 v6, -v6, v6, s38
	s_waitcnt lgkmcnt(0)
	s_delay_alu instid0(VALU_DEP_1) | instskip(SKIP_3) | instid1(VALU_DEP_1)
	v_add_f32_e32 v6, v6, v7
	ds_bpermute_b32 v7, v122, v6
	v_cndmask_b32_e64 v6, -v6, v6, s39
	s_waitcnt lgkmcnt(0)
	v_dual_add_f32 v6, v6, v7 :: v_dual_sub_f32 v7, v11, v12
	ds_bpermute_b32 v12, v144, v113
	ds_bpermute_b32 v8, v144, v7
	v_cndmask_b32_e64 v7, -v7, v7, s37
	s_waitcnt lgkmcnt(0)
	s_delay_alu instid0(VALU_DEP_1) | instskip(SKIP_3) | instid1(VALU_DEP_1)
	v_add_f32_e32 v7, v7, v8
	ds_bpermute_b32 v8, v140, v7
	v_cndmask_b32_e64 v7, -v7, v7, s35
	s_waitcnt lgkmcnt(0)
	v_add_f32_e32 v7, v7, v8
	ds_bpermute_b32 v8, v142, v7
	v_cndmask_b32_e64 v7, -v7, v7, s36
	s_waitcnt lgkmcnt(0)
	s_delay_alu instid0(VALU_DEP_1) | instskip(SKIP_3) | instid1(VALU_DEP_1)
	v_add_f32_e32 v7, v7, v8
	ds_bpermute_b32 v8, v121, v7
	v_cndmask_b32_e64 v7, -v7, v7, s38
	s_waitcnt lgkmcnt(0)
	v_add_f32_e32 v7, v7, v8
	ds_bpermute_b32 v8, v122, v7
	v_cndmask_b32_e64 v7, -v7, v7, s39
	s_waitcnt lgkmcnt(0)
	s_delay_alu instid0(VALU_DEP_1)
	v_add_f32_e32 v7, v7, v8
	ds_store_b128 v138, v[0:3] offset:24576
	ds_store_b128 v138, v[4:7] offset:28672
	ds_bpermute_b32 v3, v144, v117
	v_cndmask_b32_e64 v6, -v117, v117, s37
	ds_bpermute_b32 v4, v144, v118
	v_cndmask_b32_e64 v7, -v118, v118, s37
	;; [unrolled: 2-line block ×4, first 2 shown]
	s_waitcnt lgkmcnt(0)
	s_barrier
	buffer_gl0_inv
	v_dual_add_f32 v3, v6, v3 :: v_dual_add_f32 v4, v7, v4
	v_add_f32_e32 v0, v5, v0
	ds_bpermute_b32 v6, v140, v3
	v_cndmask_b32_e64 v3, -v3, v3, s35
	s_waitcnt lgkmcnt(0)
	s_delay_alu instid0(VALU_DEP_1) | instskip(SKIP_3) | instid1(VALU_DEP_1)
	v_add_f32_e32 v3, v3, v6
	ds_bpermute_b32 v6, v140, v4
	v_cndmask_b32_e64 v4, -v4, v4, s35
	s_waitcnt lgkmcnt(0)
	v_add_f32_e32 v4, v4, v6
	ds_bpermute_b32 v6, v142, v3
	v_cndmask_b32_e64 v3, -v3, v3, s36
	ds_bpermute_b32 v7, v142, v4
	v_cndmask_b32_e64 v4, -v4, v4, s36
	s_waitcnt lgkmcnt(1)
	v_add_f32_e32 v8, v3, v6
	ds_bpermute_b32 v3, v140, v0
	v_cndmask_b32_e64 v0, -v0, v0, s35
	s_waitcnt lgkmcnt(1)
	v_add_f32_e32 v9, v4, v7
	s_waitcnt lgkmcnt(0)
	s_delay_alu instid0(VALU_DEP_2) | instskip(SKIP_3) | instid1(VALU_DEP_1)
	v_add_f32_e32 v0, v0, v3
	ds_bpermute_b32 v3, v142, v0
	v_cndmask_b32_e64 v0, -v0, v0, s36
	s_waitcnt lgkmcnt(0)
	v_add_f32_e32 v10, v0, v3
	v_add_f32_e32 v0, v2, v1
	ds_bpermute_b32 v1, v140, v0
	v_cndmask_b32_e64 v0, -v0, v0, s35
	s_waitcnt lgkmcnt(0)
	s_delay_alu instid0(VALU_DEP_1) | instskip(SKIP_3) | instid1(VALU_DEP_1)
	v_add_f32_e32 v0, v0, v1
	ds_bpermute_b32 v1, v142, v0
	v_cndmask_b32_e64 v0, -v0, v0, s36
	s_waitcnt lgkmcnt(0)
	v_dual_add_f32 v11, v0, v1 :: v_dual_add_f32 v0, v15, v12
	v_add_f32_e32 v1, v17, v13
	ds_bpermute_b32 v17, v144, v106
	ds_bpermute_b32 v2, v140, v0
	v_cndmask_b32_e64 v0, -v0, v0, s35
	s_waitcnt lgkmcnt(0)
	s_delay_alu instid0(VALU_DEP_1) | instskip(SKIP_3) | instid1(VALU_DEP_1)
	v_add_f32_e32 v0, v0, v2
	ds_bpermute_b32 v2, v140, v1
	v_cndmask_b32_e64 v1, -v1, v1, s35
	s_waitcnt lgkmcnt(0)
	v_add_f32_e32 v1, v1, v2
	ds_bpermute_b32 v2, v142, v0
	v_cndmask_b32_e64 v0, -v0, v0, s36
	ds_bpermute_b32 v3, v142, v1
	v_cndmask_b32_e64 v1, -v1, v1, s36
	s_waitcnt lgkmcnt(1)
	v_add_f32_e32 v12, v0, v2
	v_add_f32_e32 v0, v18, v14
	v_cndmask_b32_e64 v18, -v105, v105, s37
	s_waitcnt lgkmcnt(0)
	v_add_f32_e32 v13, v1, v3
	ds_bpermute_b32 v1, v140, v0
	v_cndmask_b32_e64 v0, -v0, v0, s35
	s_waitcnt lgkmcnt(0)
	s_delay_alu instid0(VALU_DEP_1) | instskip(SKIP_3) | instid1(VALU_DEP_1)
	v_add_f32_e32 v0, v0, v1
	ds_bpermute_b32 v1, v142, v0
	v_cndmask_b32_e64 v0, -v0, v0, s36
	s_waitcnt lgkmcnt(0)
	v_add_f32_e32 v14, v0, v1
	v_add_f32_e32 v0, v19, v16
	ds_bpermute_b32 v16, v144, v105
	v_cndmask_b32_e64 v19, -v106, v106, s37
	v_cndmask_b32_e64 v105, -v74, v74, s37
	;; [unrolled: 1-line block ×3, first 2 shown]
	ds_bpermute_b32 v1, v140, v0
	v_cndmask_b32_e64 v0, -v0, v0, s35
	s_waitcnt lgkmcnt(0)
	s_delay_alu instid0(VALU_DEP_1) | instskip(SKIP_3) | instid1(VALU_DEP_1)
	v_add_f32_e32 v0, v0, v1
	ds_bpermute_b32 v1, v142, v0
	v_cndmask_b32_e64 v0, -v0, v0, s36
	s_waitcnt lgkmcnt(0)
	v_add_f32_e32 v15, v0, v1
	ds_load_b128 v[133:136], v146
	ds_load_b128 v[129:132], v146 offset:4096
	ds_load_b128 v[125:128], v146 offset:8192
	;; [unrolled: 1-line block ×7, first 2 shown]
	s_waitcnt lgkmcnt(0)
	s_barrier
	buffer_gl0_inv
	ds_store_b128 v146, v[8:11]
	ds_store_b128 v146, v[12:15] offset:4096
	ds_bpermute_b32 v8, v144, v109
	v_cndmask_b32_e64 v10, -v109, v109, s37
	ds_bpermute_b32 v9, v144, v110
	v_cndmask_b32_e64 v13, -v110, v110, s37
	;; [unrolled: 2-line block ×4, first 2 shown]
	s_waitcnt lgkmcnt(2)
	v_dual_add_f32 v8, v10, v8 :: v_dual_add_f32 v9, v13, v9
	ds_bpermute_b32 v10, v140, v8
	v_cndmask_b32_e64 v8, -v8, v8, s35
	s_waitcnt lgkmcnt(0)
	s_delay_alu instid0(VALU_DEP_1) | instskip(SKIP_3) | instid1(VALU_DEP_1)
	v_add_f32_e32 v8, v8, v10
	ds_bpermute_b32 v10, v140, v9
	v_cndmask_b32_e64 v9, -v9, v9, s35
	s_waitcnt lgkmcnt(0)
	v_add_f32_e32 v9, v9, v10
	ds_bpermute_b32 v10, v142, v8
	v_cndmask_b32_e64 v8, -v8, v8, s36
	ds_bpermute_b32 v13, v142, v9
	v_cndmask_b32_e64 v9, -v9, v9, s36
	s_waitcnt lgkmcnt(1)
	v_add_f32_e32 v8, v8, v10
	s_waitcnt lgkmcnt(0)
	s_delay_alu instid0(VALU_DEP_2)
	v_dual_add_f32 v10, v14, v11 :: v_dual_add_f32 v9, v9, v13
	v_add_f32_e32 v13, v19, v17
	ds_bpermute_b32 v11, v140, v10
	v_cndmask_b32_e64 v10, -v10, v10, s35
	v_cndmask_b32_e64 v19, -v97, v97, s37
	ds_bpermute_b32 v17, v144, v98
	s_waitcnt lgkmcnt(1)
	v_add_f32_e32 v10, v10, v11
	ds_bpermute_b32 v11, v142, v10
	v_cndmask_b32_e64 v10, -v10, v10, s36
	s_waitcnt lgkmcnt(0)
	s_delay_alu instid0(VALU_DEP_1) | instskip(SKIP_3) | instid1(VALU_DEP_1)
	v_dual_add_f32 v10, v10, v11 :: v_dual_add_f32 v11, v15, v12
	ds_bpermute_b32 v12, v140, v11
	v_cndmask_b32_e64 v11, -v11, v11, s35
	s_waitcnt lgkmcnt(0)
	v_add_f32_e32 v11, v11, v12
	ds_bpermute_b32 v12, v142, v11
	v_cndmask_b32_e64 v11, -v11, v11, s36
	s_waitcnt lgkmcnt(0)
	s_delay_alu instid0(VALU_DEP_1)
	v_add_f32_e32 v11, v11, v12
	v_add_f32_e32 v12, v18, v16
	ds_bpermute_b32 v18, v144, v99
	ds_bpermute_b32 v14, v140, v12
	v_cndmask_b32_e64 v12, -v12, v12, s35
	s_waitcnt lgkmcnt(0)
	s_delay_alu instid0(VALU_DEP_1) | instskip(SKIP_3) | instid1(VALU_DEP_1)
	v_add_f32_e32 v12, v12, v14
	ds_bpermute_b32 v14, v140, v13
	v_cndmask_b32_e64 v13, -v13, v13, s35
	s_waitcnt lgkmcnt(0)
	v_add_f32_e32 v13, v13, v14
	ds_bpermute_b32 v14, v142, v12
	v_cndmask_b32_e64 v12, -v12, v12, s36
	ds_bpermute_b32 v15, v142, v13
	v_cndmask_b32_e64 v13, -v13, v13, s36
	s_waitcnt lgkmcnt(1)
	v_add_f32_e32 v12, v12, v14
	v_add_f32_e32 v14, v22, v20
	v_cndmask_b32_e64 v22, -v99, v99, s37
	ds_bpermute_b32 v20, v144, v100
	s_waitcnt lgkmcnt(1)
	v_add_f32_e32 v13, v13, v15
	ds_bpermute_b32 v15, v140, v14
	v_cndmask_b32_e64 v14, -v14, v14, s35
	s_waitcnt lgkmcnt(0)
	s_delay_alu instid0(VALU_DEP_1) | instskip(SKIP_3) | instid1(VALU_DEP_1)
	v_add_f32_e32 v14, v14, v15
	ds_bpermute_b32 v15, v142, v14
	v_cndmask_b32_e64 v14, -v14, v14, s36
	s_waitcnt lgkmcnt(0)
	v_dual_add_f32 v14, v14, v15 :: v_dual_add_f32 v15, v23, v21
	v_cndmask_b32_e64 v21, -v98, v98, s37
	v_cndmask_b32_e64 v23, -v100, v100, s37
	ds_bpermute_b32 v16, v140, v15
	v_cndmask_b32_e64 v15, -v15, v15, s35
	s_waitcnt lgkmcnt(0)
	s_delay_alu instid0(VALU_DEP_1) | instskip(SKIP_3) | instid1(VALU_DEP_1)
	v_add_f32_e32 v15, v15, v16
	ds_bpermute_b32 v16, v142, v15
	v_cndmask_b32_e64 v15, -v15, v15, s36
	s_waitcnt lgkmcnt(0)
	v_add_f32_e32 v15, v15, v16
	ds_store_b128 v146, v[8:11] offset:8192
	ds_store_b128 v146, v[12:15] offset:12288
	ds_bpermute_b32 v8, v144, v101
	v_cndmask_b32_e64 v11, -v101, v101, s37
	ds_bpermute_b32 v9, v144, v102
	v_cndmask_b32_e64 v12, -v102, v102, s37
	;; [unrolled: 2-line block ×4, first 2 shown]
	ds_bpermute_b32 v16, v144, v97
	s_waitcnt lgkmcnt(3)
	v_dual_add_f32 v8, v11, v8 :: v_dual_add_f32 v9, v12, v9
	s_waitcnt lgkmcnt(2)
	v_add_f32_e32 v10, v13, v10
	ds_bpermute_b32 v11, v140, v8
	v_cndmask_b32_e64 v8, -v8, v8, s35
	v_add_f32_e32 v13, v21, v17
	ds_bpermute_b32 v17, v144, v90
	v_cndmask_b32_e64 v21, -v90, v90, s37
	s_waitcnt lgkmcnt(1)
	v_add_f32_e32 v8, v8, v11
	ds_bpermute_b32 v11, v140, v9
	v_cndmask_b32_e64 v9, -v9, v9, s35
	s_waitcnt lgkmcnt(0)
	s_delay_alu instid0(VALU_DEP_1)
	v_add_f32_e32 v9, v9, v11
	ds_bpermute_b32 v11, v142, v8
	v_cndmask_b32_e64 v8, -v8, v8, s36
	ds_bpermute_b32 v12, v142, v9
	v_cndmask_b32_e64 v9, -v9, v9, s36
	s_waitcnt lgkmcnt(1)
	v_add_f32_e32 v8, v8, v11
	ds_bpermute_b32 v11, v140, v10
	v_cndmask_b32_e64 v10, -v10, v10, s35
	s_waitcnt lgkmcnt(0)
	s_delay_alu instid0(VALU_DEP_1) | instskip(SKIP_3) | instid1(VALU_DEP_1)
	v_dual_add_f32 v9, v9, v12 :: v_dual_add_f32 v10, v10, v11
	ds_bpermute_b32 v11, v142, v10
	v_cndmask_b32_e64 v10, -v10, v10, s36
	s_waitcnt lgkmcnt(0)
	v_dual_add_f32 v10, v10, v11 :: v_dual_add_f32 v11, v15, v14
	ds_bpermute_b32 v12, v140, v11
	v_cndmask_b32_e64 v11, -v11, v11, s35
	s_waitcnt lgkmcnt(0)
	s_delay_alu instid0(VALU_DEP_1) | instskip(SKIP_3) | instid1(VALU_DEP_1)
	v_add_f32_e32 v11, v11, v12
	ds_bpermute_b32 v12, v142, v11
	v_cndmask_b32_e64 v11, -v11, v11, s36
	s_waitcnt lgkmcnt(0)
	v_add_f32_e32 v11, v11, v12
	v_add_f32_e32 v12, v19, v16
	ds_bpermute_b32 v19, v144, v91
	ds_bpermute_b32 v14, v140, v12
	v_cndmask_b32_e64 v12, -v12, v12, s35
	s_waitcnt lgkmcnt(0)
	s_delay_alu instid0(VALU_DEP_1) | instskip(SKIP_3) | instid1(VALU_DEP_1)
	v_add_f32_e32 v12, v12, v14
	ds_bpermute_b32 v14, v140, v13
	v_cndmask_b32_e64 v13, -v13, v13, s35
	s_waitcnt lgkmcnt(0)
	v_add_f32_e32 v13, v13, v14
	ds_bpermute_b32 v14, v142, v12
	v_cndmask_b32_e64 v12, -v12, v12, s36
	ds_bpermute_b32 v15, v142, v13
	v_cndmask_b32_e64 v13, -v13, v13, s36
	s_waitcnt lgkmcnt(1)
	v_add_f32_e32 v12, v12, v14
	v_add_f32_e32 v14, v22, v18
	v_cndmask_b32_e64 v18, -v89, v89, s37
	v_cndmask_b32_e64 v22, -v91, v91, s37
	s_waitcnt lgkmcnt(0)
	v_add_f32_e32 v13, v13, v15
	ds_bpermute_b32 v15, v140, v14
	v_cndmask_b32_e64 v14, -v14, v14, s35
	s_waitcnt lgkmcnt(0)
	s_delay_alu instid0(VALU_DEP_1) | instskip(SKIP_3) | instid1(VALU_DEP_1)
	v_add_f32_e32 v14, v14, v15
	ds_bpermute_b32 v15, v142, v14
	v_cndmask_b32_e64 v14, -v14, v14, s36
	s_waitcnt lgkmcnt(0)
	v_dual_add_f32 v14, v14, v15 :: v_dual_add_f32 v15, v23, v20
	ds_bpermute_b32 v20, v144, v92
	v_cndmask_b32_e64 v23, -v92, v92, s37
	ds_bpermute_b32 v16, v140, v15
	v_cndmask_b32_e64 v15, -v15, v15, s35
	s_waitcnt lgkmcnt(0)
	s_delay_alu instid0(VALU_DEP_1) | instskip(SKIP_3) | instid1(VALU_DEP_1)
	v_add_f32_e32 v15, v15, v16
	ds_bpermute_b32 v16, v142, v15
	v_cndmask_b32_e64 v15, -v15, v15, s36
	s_waitcnt lgkmcnt(0)
	v_add_f32_e32 v15, v15, v16
	ds_store_b128 v146, v[8:11] offset:16384
	ds_store_b128 v146, v[12:15] offset:20480
	ds_bpermute_b32 v8, v144, v93
	v_cndmask_b32_e64 v11, -v93, v93, s37
	ds_bpermute_b32 v9, v144, v94
	v_cndmask_b32_e64 v13, -v94, v94, s37
	;; [unrolled: 2-line block ×4, first 2 shown]
	ds_bpermute_b32 v16, v144, v89
	s_waitcnt lgkmcnt(3)
	v_dual_add_f32 v8, v11, v8 :: v_dual_add_f32 v9, v13, v9
	s_waitcnt lgkmcnt(2)
	v_add_f32_e32 v10, v14, v10
	ds_bpermute_b32 v11, v140, v8
	v_cndmask_b32_e64 v8, -v8, v8, s35
	s_waitcnt lgkmcnt(0)
	s_delay_alu instid0(VALU_DEP_1) | instskip(SKIP_3) | instid1(VALU_DEP_1)
	v_add_f32_e32 v8, v8, v11
	ds_bpermute_b32 v11, v140, v9
	v_cndmask_b32_e64 v9, -v9, v9, s35
	s_waitcnt lgkmcnt(0)
	v_add_f32_e32 v9, v9, v11
	ds_bpermute_b32 v11, v142, v8
	v_cndmask_b32_e64 v8, -v8, v8, s36
	ds_bpermute_b32 v13, v142, v9
	v_cndmask_b32_e64 v9, -v9, v9, s36
	s_waitcnt lgkmcnt(1)
	v_add_f32_e32 v8, v8, v11
	ds_bpermute_b32 v11, v140, v10
	v_cndmask_b32_e64 v10, -v10, v10, s35
	s_waitcnt lgkmcnt(1)
	v_add_f32_e32 v9, v9, v13
	v_add_f32_e32 v13, v21, v17
	ds_bpermute_b32 v17, v144, v82
	v_cndmask_b32_e64 v21, -v83, v83, s37
	s_waitcnt lgkmcnt(1)
	v_add_f32_e32 v10, v10, v11
	ds_bpermute_b32 v11, v142, v10
	v_cndmask_b32_e64 v10, -v10, v10, s36
	s_waitcnt lgkmcnt(0)
	s_delay_alu instid0(VALU_DEP_1) | instskip(SKIP_3) | instid1(VALU_DEP_1)
	v_dual_add_f32 v10, v10, v11 :: v_dual_add_f32 v11, v15, v12
	ds_bpermute_b32 v12, v140, v11
	v_cndmask_b32_e64 v11, -v11, v11, s35
	s_waitcnt lgkmcnt(0)
	v_add_f32_e32 v11, v11, v12
	ds_bpermute_b32 v12, v142, v11
	v_cndmask_b32_e64 v11, -v11, v11, s36
	s_waitcnt lgkmcnt(0)
	s_delay_alu instid0(VALU_DEP_1)
	v_add_f32_e32 v11, v11, v12
	v_add_f32_e32 v12, v18, v16
	ds_bpermute_b32 v18, v144, v83
	ds_bpermute_b32 v14, v140, v12
	v_cndmask_b32_e64 v12, -v12, v12, s35
	s_waitcnt lgkmcnt(0)
	s_delay_alu instid0(VALU_DEP_1) | instskip(SKIP_3) | instid1(VALU_DEP_1)
	v_add_f32_e32 v12, v12, v14
	ds_bpermute_b32 v14, v140, v13
	v_cndmask_b32_e64 v13, -v13, v13, s35
	s_waitcnt lgkmcnt(0)
	v_add_f32_e32 v13, v13, v14
	ds_bpermute_b32 v14, v142, v12
	v_cndmask_b32_e64 v12, -v12, v12, s36
	ds_bpermute_b32 v15, v142, v13
	v_cndmask_b32_e64 v13, -v13, v13, s36
	s_waitcnt lgkmcnt(1)
	v_add_f32_e32 v12, v12, v14
	v_add_f32_e32 v14, v22, v19
	v_cndmask_b32_e64 v19, -v81, v81, s37
	ds_bpermute_b32 v22, v144, v84
	s_waitcnt lgkmcnt(1)
	v_add_f32_e32 v13, v13, v15
	ds_bpermute_b32 v15, v140, v14
	v_cndmask_b32_e64 v14, -v14, v14, s35
	s_waitcnt lgkmcnt(0)
	s_delay_alu instid0(VALU_DEP_1) | instskip(SKIP_3) | instid1(VALU_DEP_1)
	v_add_f32_e32 v14, v14, v15
	ds_bpermute_b32 v15, v142, v14
	v_cndmask_b32_e64 v14, -v14, v14, s36
	s_waitcnt lgkmcnt(0)
	v_dual_add_f32 v14, v14, v15 :: v_dual_add_f32 v15, v23, v20
	v_cndmask_b32_e64 v20, -v82, v82, s37
	v_cndmask_b32_e64 v23, -v84, v84, s37
	ds_bpermute_b32 v16, v140, v15
	v_cndmask_b32_e64 v15, -v15, v15, s35
	s_waitcnt lgkmcnt(0)
	s_delay_alu instid0(VALU_DEP_1) | instskip(SKIP_3) | instid1(VALU_DEP_1)
	v_add_f32_e32 v15, v15, v16
	ds_bpermute_b32 v16, v142, v15
	v_cndmask_b32_e64 v15, -v15, v15, s36
	s_waitcnt lgkmcnt(0)
	v_add_f32_e32 v15, v15, v16
	ds_store_b128 v146, v[8:11] offset:24576
	ds_store_b128 v146, v[12:15] offset:28672
	ds_bpermute_b32 v8, v144, v85
	v_cndmask_b32_e64 v10, -v85, v85, s37
	ds_bpermute_b32 v9, v144, v86
	v_cndmask_b32_e64 v11, -v86, v86, s37
	;; [unrolled: 2-line block ×4, first 2 shown]
	ds_bpermute_b32 v16, v144, v81
	s_waitcnt lgkmcnt(0)
	s_barrier
	buffer_gl0_inv
	v_dual_add_f32 v8, v10, v8 :: v_dual_add_f32 v9, v11, v9
	ds_bpermute_b32 v10, v140, v8
	v_cndmask_b32_e64 v8, -v8, v8, s35
	s_waitcnt lgkmcnt(0)
	s_delay_alu instid0(VALU_DEP_1) | instskip(SKIP_3) | instid1(VALU_DEP_1)
	v_add_f32_e32 v8, v8, v10
	ds_bpermute_b32 v10, v140, v9
	v_cndmask_b32_e64 v9, -v9, v9, s35
	s_waitcnt lgkmcnt(0)
	v_add_f32_e32 v9, v9, v10
	ds_bpermute_b32 v10, v142, v8
	v_cndmask_b32_e64 v8, -v8, v8, s36
	ds_bpermute_b32 v11, v142, v9
	v_cndmask_b32_e64 v9, -v9, v9, s36
	s_waitcnt lgkmcnt(1)
	v_dual_add_f32 v97, v8, v10 :: v_dual_add_f32 v8, v14, v12
	s_waitcnt lgkmcnt(0)
	s_delay_alu instid0(VALU_DEP_2) | instskip(SKIP_3) | instid1(VALU_DEP_1)
	v_add_f32_e32 v98, v9, v11
	ds_bpermute_b32 v9, v140, v8
	v_cndmask_b32_e64 v8, -v8, v8, s35
	s_waitcnt lgkmcnt(0)
	v_add_f32_e32 v8, v8, v9
	ds_bpermute_b32 v9, v142, v8
	v_cndmask_b32_e64 v8, -v8, v8, s36
	s_waitcnt lgkmcnt(0)
	s_delay_alu instid0(VALU_DEP_1) | instskip(SKIP_4) | instid1(VALU_DEP_1)
	v_add_f32_e32 v99, v8, v9
	v_add_f32_e32 v8, v15, v13
	ds_bpermute_b32 v9, v140, v8
	v_cndmask_b32_e64 v8, -v8, v8, s35
	s_waitcnt lgkmcnt(0)
	v_add_f32_e32 v8, v8, v9
	ds_bpermute_b32 v9, v142, v8
	v_cndmask_b32_e64 v8, -v8, v8, s36
	s_waitcnt lgkmcnt(0)
	s_delay_alu instid0(VALU_DEP_1) | instskip(SKIP_4) | instid1(VALU_DEP_1)
	v_add_f32_e32 v100, v8, v9
	v_dual_add_f32 v8, v19, v16 :: v_dual_add_f32 v9, v20, v17
	ds_bpermute_b32 v10, v140, v8
	v_cndmask_b32_e64 v8, -v8, v8, s35
	s_waitcnt lgkmcnt(0)
	v_add_f32_e32 v8, v8, v10
	ds_bpermute_b32 v10, v140, v9
	v_cndmask_b32_e64 v9, -v9, v9, s35
	s_waitcnt lgkmcnt(0)
	s_delay_alu instid0(VALU_DEP_1)
	v_add_f32_e32 v9, v9, v10
	ds_bpermute_b32 v10, v142, v8
	v_cndmask_b32_e64 v8, -v8, v8, s36
	ds_bpermute_b32 v11, v142, v9
	v_cndmask_b32_e64 v9, -v9, v9, s36
	s_waitcnt lgkmcnt(1)
	v_add_f32_e32 v101, v8, v10
	v_add_f32_e32 v8, v21, v18
	s_waitcnt lgkmcnt(0)
	v_add_f32_e32 v102, v9, v11
	ds_bpermute_b32 v9, v140, v8
	v_cndmask_b32_e64 v8, -v8, v8, s35
	s_waitcnt lgkmcnt(0)
	s_delay_alu instid0(VALU_DEP_1) | instskip(SKIP_3) | instid1(VALU_DEP_1)
	v_add_f32_e32 v8, v8, v9
	ds_bpermute_b32 v9, v142, v8
	v_cndmask_b32_e64 v8, -v8, v8, s36
	s_waitcnt lgkmcnt(0)
	v_dual_add_f32 v103, v8, v9 :: v_dual_add_f32 v8, v23, v22
	ds_bpermute_b32 v9, v140, v8
	v_cndmask_b32_e64 v8, -v8, v8, s35
	s_waitcnt lgkmcnt(0)
	s_delay_alu instid0(VALU_DEP_1) | instskip(SKIP_3) | instid1(VALU_DEP_1)
	v_add_f32_e32 v8, v8, v9
	ds_bpermute_b32 v9, v142, v8
	v_cndmask_b32_e64 v8, -v8, v8, s36
	s_waitcnt lgkmcnt(0)
	v_add_f32_e32 v104, v8, v9
	ds_load_b128 v[89:92], v138
	ds_load_b128 v[93:96], v138 offset:4096
	ds_load_b128 v[81:84], v138 offset:8192
	;; [unrolled: 1-line block ×7, first 2 shown]
	s_waitcnt lgkmcnt(0)
	s_barrier
	buffer_gl0_inv
	ds_store_b128 v146, v[97:100]
	ds_store_b128 v146, v[101:104] offset:4096
	ds_bpermute_b32 v97, v144, v78
	ds_bpermute_b32 v101, v144, v74
	;; [unrolled: 1-line block ×3, first 2 shown]
	v_cndmask_b32_e64 v78, -v78, v78, s37
	ds_bpermute_b32 v100, v144, v73
	v_cndmask_b32_e64 v103, -v73, v73, s37
	v_cndmask_b32_e64 v24, -v24, v24, s35
	ds_bpermute_b32 v98, v144, v79
	ds_bpermute_b32 v102, v144, v75
	v_cndmask_b32_e64 v79, -v79, v79, s37
	ds_bpermute_b32 v104, v144, v76
	ds_bpermute_b32 v99, v144, v80
	v_cndmask_b32_e64 v80, -v80, v80, s37
	v_add_f32_e32 v216, v89, v93
	v_add_f32_e32 v220, v81, v85
	;; [unrolled: 1-line block ×3, first 2 shown]
	v_dual_add_f32 v228, v8, v12 :: v_dual_add_f32 v217, v90, v94
	v_add_f32_e32 v221, v82, v86
	v_add_f32_e32 v225, v17, v21
	s_waitcnt lgkmcnt(7)
	v_add_f32_e32 v73, v78, v97
	s_waitcnt lgkmcnt(5)
	v_dual_add_f32 v77, v105, v101 :: v_dual_add_f32 v24, v24, v74
	ds_bpermute_b32 v97, v144, v68
	v_cndmask_b32_e64 v105, -v43, v43, s37
	ds_bpermute_b32 v74, v140, v73
	v_cndmask_b32_e64 v73, -v73, v73, s35
	v_dual_add_f32 v229, v9, v13 :: v_dual_add_f32 v168, v216, v220
	v_add_f32_e32 v188, v224, v228
	v_add_f32_e32 v218, v91, v95
	;; [unrolled: 1-line block ×10, first 2 shown]
	v_dual_add_f32 v231, v11, v15 :: v_dual_add_f32 v172, v218, v222
	v_add_f32_e32 v190, v226, v230
	s_delay_alu instid0(VALU_DEP_4) | instskip(NEXT) | instid1(VALU_DEP_3)
	v_add_f32_e32 v174, v219, v223
	v_add_f32_e32 v191, v227, v231
	s_waitcnt lgkmcnt(0)
	v_add_f32_e32 v73, v73, v74
	ds_bpermute_b32 v74, v142, v24
	v_cndmask_b32_e64 v24, -v24, v24, s36
	ds_bpermute_b32 v75, v142, v73
	v_cndmask_b32_e64 v76, -v73, v73, s36
	s_waitcnt lgkmcnt(1)
	v_add_f32_e32 v73, v24, v74
	v_add_f32_e32 v24, v79, v98
	v_cndmask_b32_e64 v98, -v67, v67, s37
	s_waitcnt lgkmcnt(0)
	v_add_f32_e32 v74, v76, v75
	ds_bpermute_b32 v75, v140, v24
	v_cndmask_b32_e64 v24, -v24, v24, s35
	s_waitcnt lgkmcnt(0)
	s_delay_alu instid0(VALU_DEP_1) | instskip(SKIP_3) | instid1(VALU_DEP_1)
	v_add_f32_e32 v24, v24, v75
	ds_bpermute_b32 v75, v142, v24
	v_cndmask_b32_e64 v24, -v24, v24, s36
	s_waitcnt lgkmcnt(0)
	v_add_f32_e32 v75, v24, v75
	v_add_f32_e32 v24, v80, v99
	v_cndmask_b32_e64 v99, -v68, v68, s37
	ds_bpermute_b32 v76, v140, v24
	v_cndmask_b32_e64 v24, -v24, v24, s35
	s_waitcnt lgkmcnt(0)
	s_delay_alu instid0(VALU_DEP_1) | instskip(SKIP_3) | instid1(VALU_DEP_1)
	v_add_f32_e32 v24, v24, v76
	ds_bpermute_b32 v76, v142, v24
	v_cndmask_b32_e64 v24, -v24, v24, s36
	s_waitcnt lgkmcnt(0)
	v_add_f32_e32 v76, v24, v76
	v_add_f32_e32 v24, v103, v100
	ds_bpermute_b32 v78, v140, v24
	v_cndmask_b32_e64 v24, -v24, v24, s35
	s_waitcnt lgkmcnt(0)
	s_delay_alu instid0(VALU_DEP_1) | instskip(SKIP_3) | instid1(VALU_DEP_1)
	v_add_f32_e32 v24, v24, v78
	ds_bpermute_b32 v78, v140, v77
	v_cndmask_b32_e64 v77, -v77, v77, s35
	s_waitcnt lgkmcnt(0)
	v_add_f32_e32 v77, v77, v78
	ds_bpermute_b32 v78, v142, v24
	v_cndmask_b32_e64 v24, -v24, v24, s36
	ds_bpermute_b32 v79, v142, v77
	v_cndmask_b32_e64 v80, -v77, v77, s36
	s_waitcnt lgkmcnt(1)
	v_add_f32_e32 v77, v24, v78
	v_add_f32_e32 v24, v106, v102
	ds_bpermute_b32 v106, v144, v44
	s_waitcnt lgkmcnt(1)
	v_add_f32_e32 v78, v80, v79
	ds_bpermute_b32 v79, v140, v24
	v_cndmask_b32_e64 v24, -v24, v24, s35
	s_waitcnt lgkmcnt(0)
	s_delay_alu instid0(VALU_DEP_1) | instskip(SKIP_3) | instid1(VALU_DEP_1)
	v_add_f32_e32 v24, v24, v79
	ds_bpermute_b32 v79, v142, v24
	v_cndmask_b32_e64 v24, -v24, v24, s36
	s_waitcnt lgkmcnt(0)
	v_dual_add_f32 v79, v24, v79 :: v_dual_add_f32 v24, v107, v104
	v_cndmask_b32_e64 v107, -v44, v44, s37
	ds_bpermute_b32 v80, v140, v24
	v_cndmask_b32_e64 v24, -v24, v24, s35
	s_waitcnt lgkmcnt(0)
	s_delay_alu instid0(VALU_DEP_1) | instskip(SKIP_3) | instid1(VALU_DEP_1)
	v_add_f32_e32 v24, v24, v80
	ds_bpermute_b32 v80, v142, v24
	v_cndmask_b32_e64 v24, -v24, v24, s36
	s_waitcnt lgkmcnt(0)
	v_add_f32_e32 v80, v24, v80
	ds_bpermute_b32 v24, v144, v69
	v_cndmask_b32_e64 v69, -v69, v69, s37
	ds_store_b128 v146, v[73:76] offset:8192
	ds_store_b128 v146, v[77:80] offset:12288
	ds_bpermute_b32 v73, v144, v70
	ds_bpermute_b32 v77, v144, v66
	v_cndmask_b32_e64 v79, -v66, v66, s37
	v_cndmask_b32_e64 v70, -v70, v70, s37
	ds_bpermute_b32 v76, v144, v65
	v_cndmask_b32_e64 v78, -v65, v65, s37
	ds_bpermute_b32 v74, v144, v71
	ds_bpermute_b32 v80, v144, v67
	v_cndmask_b32_e64 v71, -v71, v71, s37
	ds_bpermute_b32 v75, v144, v72
	v_cndmask_b32_e64 v72, -v72, v72, s37
	s_waitcnt lgkmcnt(5)
	v_dual_add_f32 v24, v69, v24 :: v_dual_add_f32 v65, v70, v73
	ds_bpermute_b32 v66, v140, v24
	v_cndmask_b32_e64 v24, -v24, v24, s35
	s_waitcnt lgkmcnt(5)
	v_add_f32_e32 v69, v79, v77
	v_cndmask_b32_e64 v73, -v58, v58, s37
	s_waitcnt lgkmcnt(0)
	v_add_f32_e32 v24, v24, v66
	ds_bpermute_b32 v66, v140, v65
	v_cndmask_b32_e64 v65, -v65, v65, s35
	s_waitcnt lgkmcnt(0)
	s_delay_alu instid0(VALU_DEP_1)
	v_add_f32_e32 v65, v65, v66
	ds_bpermute_b32 v66, v142, v24
	v_cndmask_b32_e64 v24, -v24, v24, s36
	ds_bpermute_b32 v67, v142, v65
	v_cndmask_b32_e64 v68, -v65, v65, s36
	s_waitcnt lgkmcnt(1)
	v_add_f32_e32 v65, v24, v66
	v_add_f32_e32 v24, v71, v74
	v_cndmask_b32_e64 v74, -v59, v59, s37
	s_waitcnt lgkmcnt(0)
	v_add_f32_e32 v66, v68, v67
	ds_bpermute_b32 v67, v140, v24
	v_cndmask_b32_e64 v24, -v24, v24, s35
	s_waitcnt lgkmcnt(0)
	s_delay_alu instid0(VALU_DEP_1) | instskip(SKIP_3) | instid1(VALU_DEP_1)
	v_add_f32_e32 v24, v24, v67
	ds_bpermute_b32 v67, v142, v24
	v_cndmask_b32_e64 v24, -v24, v24, s36
	s_waitcnt lgkmcnt(0)
	v_add_f32_e32 v67, v24, v67
	v_add_f32_e32 v24, v72, v75
	v_cndmask_b32_e64 v75, -v60, v60, s37
	ds_bpermute_b32 v68, v140, v24
	v_cndmask_b32_e64 v24, -v24, v24, s35
	s_waitcnt lgkmcnt(0)
	s_delay_alu instid0(VALU_DEP_1) | instskip(SKIP_3) | instid1(VALU_DEP_1)
	v_add_f32_e32 v24, v24, v68
	ds_bpermute_b32 v68, v142, v24
	v_cndmask_b32_e64 v24, -v24, v24, s36
	s_waitcnt lgkmcnt(0)
	v_add_f32_e32 v68, v24, v68
	v_add_f32_e32 v24, v78, v76
	ds_bpermute_b32 v70, v140, v24
	v_cndmask_b32_e64 v24, -v24, v24, s35
	s_waitcnt lgkmcnt(0)
	s_delay_alu instid0(VALU_DEP_1) | instskip(SKIP_3) | instid1(VALU_DEP_1)
	v_add_f32_e32 v24, v24, v70
	ds_bpermute_b32 v70, v140, v69
	v_cndmask_b32_e64 v69, -v69, v69, s35
	s_waitcnt lgkmcnt(0)
	v_add_f32_e32 v69, v69, v70
	ds_bpermute_b32 v70, v142, v24
	v_cndmask_b32_e64 v24, -v24, v24, s36
	ds_bpermute_b32 v71, v142, v69
	v_cndmask_b32_e64 v72, -v69, v69, s36
	s_waitcnt lgkmcnt(1)
	v_dual_add_f32 v69, v24, v70 :: v_dual_add_f32 v24, v98, v80
	s_waitcnt lgkmcnt(0)
	s_delay_alu instid0(VALU_DEP_2) | instskip(SKIP_3) | instid1(VALU_DEP_1)
	v_add_f32_e32 v70, v72, v71
	ds_bpermute_b32 v71, v140, v24
	v_cndmask_b32_e64 v24, -v24, v24, s35
	s_waitcnt lgkmcnt(0)
	v_add_f32_e32 v24, v24, v71
	ds_bpermute_b32 v71, v142, v24
	v_cndmask_b32_e64 v24, -v24, v24, s36
	s_waitcnt lgkmcnt(0)
	s_delay_alu instid0(VALU_DEP_1) | instskip(SKIP_3) | instid1(VALU_DEP_1)
	v_dual_add_f32 v71, v24, v71 :: v_dual_add_f32 v24, v99, v97
	ds_bpermute_b32 v72, v140, v24
	v_cndmask_b32_e64 v24, -v24, v24, s35
	s_waitcnt lgkmcnt(0)
	v_add_f32_e32 v24, v24, v72
	ds_bpermute_b32 v72, v142, v24
	v_cndmask_b32_e64 v24, -v24, v24, s36
	s_waitcnt lgkmcnt(0)
	s_delay_alu instid0(VALU_DEP_1)
	v_add_f32_e32 v72, v24, v72
	ds_bpermute_b32 v24, v144, v61
	v_cndmask_b32_e64 v61, -v61, v61, s37
	ds_store_b128 v146, v[65:68] offset:16384
	ds_store_b128 v146, v[69:72] offset:20480
	ds_bpermute_b32 v65, v144, v62
	ds_bpermute_b32 v69, v144, v58
	v_cndmask_b32_e64 v62, -v62, v62, s37
	ds_bpermute_b32 v68, v144, v57
	v_cndmask_b32_e64 v71, -v57, v57, s37
	ds_bpermute_b32 v66, v144, v63
	ds_bpermute_b32 v70, v144, v59
	v_cndmask_b32_e64 v63, -v63, v63, s37
	ds_bpermute_b32 v72, v144, v60
	ds_bpermute_b32 v67, v144, v64
	v_cndmask_b32_e64 v64, -v64, v64, s37
	s_waitcnt lgkmcnt(6)
	v_dual_add_f32 v24, v61, v24 :: v_dual_add_f32 v57, v62, v65
	ds_bpermute_b32 v58, v140, v24
	v_cndmask_b32_e64 v24, -v24, v24, s35
	s_waitcnt lgkmcnt(0)
	s_delay_alu instid0(VALU_DEP_1) | instskip(SKIP_3) | instid1(VALU_DEP_1)
	v_dual_add_f32 v61, v73, v69 :: v_dual_add_f32 v24, v24, v58
	ds_bpermute_b32 v58, v140, v57
	v_cndmask_b32_e64 v57, -v57, v57, s35
	s_waitcnt lgkmcnt(0)
	v_add_f32_e32 v57, v57, v58
	ds_bpermute_b32 v58, v142, v24
	v_cndmask_b32_e64 v24, -v24, v24, s36
	ds_bpermute_b32 v59, v142, v57
	v_cndmask_b32_e64 v60, -v57, v57, s36
	s_waitcnt lgkmcnt(1)
	v_add_f32_e32 v57, v24, v58
	v_add_f32_e32 v24, v63, v66
	s_waitcnt lgkmcnt(0)
	v_add_f32_e32 v58, v60, v59
	ds_bpermute_b32 v59, v140, v24
	v_cndmask_b32_e64 v24, -v24, v24, s35
	s_waitcnt lgkmcnt(0)
	s_delay_alu instid0(VALU_DEP_1) | instskip(SKIP_3) | instid1(VALU_DEP_1)
	v_add_f32_e32 v24, v24, v59
	ds_bpermute_b32 v59, v142, v24
	v_cndmask_b32_e64 v24, -v24, v24, s36
	s_waitcnt lgkmcnt(0)
	v_add_f32_e32 v59, v24, v59
	v_add_f32_e32 v24, v64, v67
	ds_bpermute_b32 v60, v140, v24
	v_cndmask_b32_e64 v24, -v24, v24, s35
	s_waitcnt lgkmcnt(0)
	s_delay_alu instid0(VALU_DEP_1) | instskip(SKIP_3) | instid1(VALU_DEP_1)
	v_add_f32_e32 v24, v24, v60
	ds_bpermute_b32 v60, v142, v24
	v_cndmask_b32_e64 v24, -v24, v24, s36
	s_waitcnt lgkmcnt(0)
	v_add_f32_e32 v60, v24, v60
	;; [unrolled: 10-line block ×3, first 2 shown]
	ds_bpermute_b32 v62, v142, v24
	v_cndmask_b32_e64 v24, -v24, v24, s36
	ds_bpermute_b32 v63, v142, v61
	v_cndmask_b32_e64 v64, -v61, v61, s36
	s_waitcnt lgkmcnt(1)
	v_add_f32_e32 v61, v24, v62
	v_add_f32_e32 v24, v74, v70
	s_waitcnt lgkmcnt(0)
	v_add_f32_e32 v62, v64, v63
	ds_bpermute_b32 v63, v140, v24
	v_cndmask_b32_e64 v24, -v24, v24, s35
	s_waitcnt lgkmcnt(0)
	s_delay_alu instid0(VALU_DEP_1) | instskip(SKIP_3) | instid1(VALU_DEP_1)
	v_add_f32_e32 v24, v24, v63
	ds_bpermute_b32 v63, v142, v24
	v_cndmask_b32_e64 v24, -v24, v24, s36
	s_waitcnt lgkmcnt(0)
	v_dual_add_f32 v63, v24, v63 :: v_dual_add_f32 v24, v75, v72
	ds_bpermute_b32 v64, v140, v24
	v_cndmask_b32_e64 v24, -v24, v24, s35
	s_waitcnt lgkmcnt(0)
	s_delay_alu instid0(VALU_DEP_1) | instskip(SKIP_3) | instid1(VALU_DEP_1)
	v_add_f32_e32 v24, v24, v64
	ds_bpermute_b32 v64, v142, v24
	v_cndmask_b32_e64 v24, -v24, v24, s36
	s_waitcnt lgkmcnt(0)
	v_add_f32_e32 v64, v24, v64
	ds_bpermute_b32 v24, v144, v53
	ds_store_b128 v146, v[57:60] offset:24576
	ds_store_b128 v146, v[61:64] offset:28672
	ds_bpermute_b32 v57, v144, v54
	v_cndmask_b32_e64 v53, -v53, v53, s37
	v_cndmask_b32_e64 v54, -v54, v54, s37
	ds_bpermute_b32 v58, v144, v55
	v_cndmask_b32_e64 v55, -v55, v55, s37
	ds_bpermute_b32 v59, v144, v56
	v_cndmask_b32_e64 v56, -v56, v56, s37
	ds_bpermute_b32 v60, v144, v49
	ds_bpermute_b32 v61, v144, v50
	v_cndmask_b32_e64 v49, -v49, v49, s37
	v_cndmask_b32_e64 v50, -v50, v50, s37
	ds_bpermute_b32 v62, v144, v51
	v_cndmask_b32_e64 v51, -v51, v51, s37
	ds_bpermute_b32 v63, v144, v52
	v_cndmask_b32_e64 v52, -v52, v52, s37
	s_waitcnt lgkmcnt(0)
	v_add_f32_e32 v24, v53, v24
	s_barrier
	buffer_gl0_inv
	v_add_f32_e32 v53, v54, v57
	ds_bpermute_b32 v54, v140, v24
	v_cndmask_b32_e64 v24, -v24, v24, s35
	s_waitcnt lgkmcnt(0)
	s_delay_alu instid0(VALU_DEP_1) | instskip(SKIP_3) | instid1(VALU_DEP_1)
	v_add_f32_e32 v24, v24, v54
	ds_bpermute_b32 v54, v140, v53
	v_cndmask_b32_e64 v53, -v53, v53, s35
	s_waitcnt lgkmcnt(0)
	v_add_f32_e32 v53, v53, v54
	ds_bpermute_b32 v54, v142, v24
	v_cndmask_b32_e64 v24, -v24, v24, s36
	ds_bpermute_b32 v57, v142, v53
	v_cndmask_b32_e64 v53, -v53, v53, s36
	s_waitcnt lgkmcnt(1)
	v_add_f32_e32 v97, v24, v54
	v_add_f32_e32 v24, v55, v58
	s_waitcnt lgkmcnt(0)
	v_add_f32_e32 v98, v53, v57
	ds_bpermute_b32 v53, v140, v24
	v_cndmask_b32_e64 v24, -v24, v24, s35
	s_waitcnt lgkmcnt(0)
	s_delay_alu instid0(VALU_DEP_1) | instskip(SKIP_3) | instid1(VALU_DEP_1)
	v_add_f32_e32 v24, v24, v53
	ds_bpermute_b32 v53, v142, v24
	v_cndmask_b32_e64 v24, -v24, v24, s36
	s_waitcnt lgkmcnt(0)
	v_add_f32_e32 v99, v24, v53
	v_add_f32_e32 v24, v56, v59
	ds_bpermute_b32 v53, v140, v24
	v_cndmask_b32_e64 v24, -v24, v24, s35
	s_waitcnt lgkmcnt(0)
	s_delay_alu instid0(VALU_DEP_1) | instskip(SKIP_3) | instid1(VALU_DEP_1)
	v_add_f32_e32 v24, v24, v53
	ds_bpermute_b32 v53, v142, v24
	v_cndmask_b32_e64 v24, -v24, v24, s36
	s_waitcnt lgkmcnt(0)
	v_add_f32_e32 v100, v24, v53
	v_dual_add_f32 v24, v49, v60 :: v_dual_add_f32 v49, v50, v61
	ds_bpermute_b32 v50, v140, v24
	v_cndmask_b32_e64 v24, -v24, v24, s35
	s_waitcnt lgkmcnt(0)
	s_delay_alu instid0(VALU_DEP_1) | instskip(SKIP_3) | instid1(VALU_DEP_1)
	v_add_f32_e32 v24, v24, v50
	ds_bpermute_b32 v50, v140, v49
	v_cndmask_b32_e64 v49, -v49, v49, s35
	s_waitcnt lgkmcnt(0)
	v_add_f32_e32 v49, v49, v50
	ds_bpermute_b32 v50, v142, v24
	v_cndmask_b32_e64 v24, -v24, v24, s36
	ds_bpermute_b32 v53, v142, v49
	v_cndmask_b32_e64 v49, -v49, v49, s36
	s_waitcnt lgkmcnt(1)
	v_add_f32_e32 v101, v24, v50
	v_add_f32_e32 v24, v51, v62
	s_waitcnt lgkmcnt(0)
	v_add_f32_e32 v102, v49, v53
	ds_bpermute_b32 v49, v140, v24
	v_cndmask_b32_e64 v24, -v24, v24, s35
	s_waitcnt lgkmcnt(0)
	s_delay_alu instid0(VALU_DEP_1) | instskip(SKIP_3) | instid1(VALU_DEP_1)
	v_add_f32_e32 v24, v24, v49
	ds_bpermute_b32 v49, v142, v24
	v_cndmask_b32_e64 v24, -v24, v24, s36
	s_waitcnt lgkmcnt(0)
	v_add_f32_e32 v103, v24, v49
	v_add_f32_e32 v24, v52, v63
	ds_bpermute_b32 v49, v140, v24
	v_cndmask_b32_e64 v24, -v24, v24, s35
	s_waitcnt lgkmcnt(0)
	s_delay_alu instid0(VALU_DEP_1) | instskip(SKIP_3) | instid1(VALU_DEP_1)
	v_add_f32_e32 v24, v24, v49
	ds_bpermute_b32 v49, v142, v24
	v_cndmask_b32_e64 v24, -v24, v24, s36
	s_waitcnt lgkmcnt(0)
	v_add_f32_e32 v104, v24, v49
	ds_bpermute_b32 v24, v144, v45
	v_cndmask_b32_e64 v45, -v45, v45, s37
	ds_load_b128 v[73:76], v138
	ds_load_b128 v[77:80], v138 offset:4096
	ds_load_b128 v[65:68], v138 offset:8192
	;; [unrolled: 1-line block ×7, first 2 shown]
	s_waitcnt lgkmcnt(0)
	s_barrier
	buffer_gl0_inv
	ds_store_b128 v146, v[97:100]
	ds_store_b128 v146, v[101:104] offset:4096
	ds_bpermute_b32 v97, v144, v46
	ds_bpermute_b32 v101, v144, v42
	v_cndmask_b32_e64 v104, -v42, v42, s37
	v_cndmask_b32_e64 v46, -v46, v46, s37
	ds_bpermute_b32 v100, v144, v41
	v_cndmask_b32_e64 v103, -v41, v41, s37
	ds_bpermute_b32 v98, v144, v47
	ds_bpermute_b32 v102, v144, v43
	v_cndmask_b32_e64 v47, -v47, v47, s37
	ds_bpermute_b32 v99, v144, v48
	v_cndmask_b32_e64 v48, -v48, v48, s37
	v_add_f32_e32 v232, v73, v77
	v_add_f32_e32 v236, v65, v69
	v_add_f32_e32 v24, v45, v24
	v_add_f32_e32 v240, v57, v61
	v_dual_add_f32 v244, v49, v53 :: v_dual_add_f32 v233, v74, v78
	v_add_f32_e32 v237, v66, v70
	ds_bpermute_b32 v42, v140, v24
	v_cndmask_b32_e64 v24, -v24, v24, s35
	s_waitcnt lgkmcnt(6)
	v_add_f32_e32 v41, v46, v97
	s_waitcnt lgkmcnt(5)
	v_add_f32_e32 v45, v104, v101
	v_cndmask_b32_e64 v97, -v34, v34, s37
	v_add_f32_e32 v241, v58, v62
	v_dual_add_f32 v245, v50, v54 :: v_dual_add_f32 v192, v232, v236
	v_add_f32_e32 v196, v240, v244
	v_add_f32_e32 v234, v75, v79
	;; [unrolled: 1-line block ×4, first 2 shown]
	v_dual_add_f32 v246, v51, v55 :: v_dual_add_f32 v193, v233, v237
	v_add_f32_e32 v197, v241, v245
	v_add_f32_e32 v235, v76, v80
	;; [unrolled: 1-line block ×4, first 2 shown]
	v_dual_add_f32 v247, v52, v56 :: v_dual_add_f32 v194, v234, v238
	s_waitcnt lgkmcnt(0)
	v_add_f32_e32 v24, v24, v42
	ds_bpermute_b32 v42, v140, v41
	v_cndmask_b32_e64 v41, -v41, v41, s35
	v_dual_add_f32 v198, v242, v246 :: v_dual_add_f32 v195, v235, v239
	s_delay_alu instid0(VALU_DEP_1) | instskip(SKIP_1) | instid1(VALU_DEP_1)
	v_dual_add_f32 v199, v243, v247 :: v_dual_add_f32 v148, v194, v198
	s_waitcnt lgkmcnt(0)
	v_dual_add_f32 v150, v195, v199 :: v_dual_add_f32 v41, v41, v42
	ds_bpermute_b32 v42, v142, v24
	v_cndmask_b32_e64 v24, -v24, v24, s36
	ds_bpermute_b32 v43, v142, v41
	v_cndmask_b32_e64 v44, -v41, v41, s36
	s_waitcnt lgkmcnt(1)
	v_add_f32_e32 v41, v24, v42
	v_add_f32_e32 v24, v47, v98
	v_cndmask_b32_e64 v98, -v35, v35, s37
	s_waitcnt lgkmcnt(0)
	v_add_f32_e32 v42, v44, v43
	ds_bpermute_b32 v43, v140, v24
	v_cndmask_b32_e64 v24, -v24, v24, s35
	s_waitcnt lgkmcnt(0)
	s_delay_alu instid0(VALU_DEP_1) | instskip(SKIP_3) | instid1(VALU_DEP_1)
	v_add_f32_e32 v24, v24, v43
	ds_bpermute_b32 v43, v142, v24
	v_cndmask_b32_e64 v24, -v24, v24, s36
	s_waitcnt lgkmcnt(0)
	v_add_f32_e32 v43, v24, v43
	v_add_f32_e32 v24, v48, v99
	v_cndmask_b32_e64 v99, -v36, v36, s37
	ds_bpermute_b32 v44, v140, v24
	v_cndmask_b32_e64 v24, -v24, v24, s35
	s_waitcnt lgkmcnt(0)
	s_delay_alu instid0(VALU_DEP_1) | instskip(SKIP_3) | instid1(VALU_DEP_1)
	v_add_f32_e32 v24, v24, v44
	ds_bpermute_b32 v44, v142, v24
	v_cndmask_b32_e64 v24, -v24, v24, s36
	s_waitcnt lgkmcnt(0)
	v_add_f32_e32 v44, v24, v44
	v_add_f32_e32 v24, v103, v100
	ds_bpermute_b32 v46, v140, v24
	v_cndmask_b32_e64 v24, -v24, v24, s35
	s_waitcnt lgkmcnt(0)
	s_delay_alu instid0(VALU_DEP_1) | instskip(SKIP_3) | instid1(VALU_DEP_1)
	v_add_f32_e32 v24, v24, v46
	ds_bpermute_b32 v46, v140, v45
	v_cndmask_b32_e64 v45, -v45, v45, s35
	s_waitcnt lgkmcnt(0)
	v_add_f32_e32 v45, v45, v46
	ds_bpermute_b32 v46, v142, v24
	v_cndmask_b32_e64 v24, -v24, v24, s36
	ds_bpermute_b32 v47, v142, v45
	v_cndmask_b32_e64 v48, -v45, v45, s36
	s_waitcnt lgkmcnt(1)
	v_add_f32_e32 v45, v24, v46
	v_add_f32_e32 v24, v105, v102
	s_waitcnt lgkmcnt(0)
	v_add_f32_e32 v46, v48, v47
	ds_bpermute_b32 v47, v140, v24
	v_cndmask_b32_e64 v24, -v24, v24, s35
	s_waitcnt lgkmcnt(0)
	s_delay_alu instid0(VALU_DEP_1) | instskip(SKIP_3) | instid1(VALU_DEP_1)
	v_add_f32_e32 v24, v24, v47
	ds_bpermute_b32 v47, v142, v24
	v_cndmask_b32_e64 v24, -v24, v24, s36
	s_waitcnt lgkmcnt(0)
	v_dual_add_f32 v47, v24, v47 :: v_dual_add_f32 v24, v107, v106
	ds_bpermute_b32 v48, v140, v24
	v_cndmask_b32_e64 v24, -v24, v24, s35
	s_waitcnt lgkmcnt(0)
	s_delay_alu instid0(VALU_DEP_1) | instskip(SKIP_3) | instid1(VALU_DEP_1)
	v_add_f32_e32 v24, v24, v48
	ds_bpermute_b32 v48, v142, v24
	v_cndmask_b32_e64 v24, -v24, v24, s36
	s_waitcnt lgkmcnt(0)
	v_add_f32_e32 v48, v24, v48
	ds_bpermute_b32 v24, v144, v37
	v_cndmask_b32_e64 v37, -v37, v37, s37
	ds_store_b128 v146, v[41:44] offset:8192
	ds_store_b128 v146, v[45:48] offset:12288
	ds_bpermute_b32 v41, v144, v38
	ds_bpermute_b32 v45, v144, v34
	v_cndmask_b32_e64 v38, -v38, v38, s37
	ds_bpermute_b32 v44, v144, v33
	v_cndmask_b32_e64 v47, -v33, v33, s37
	ds_bpermute_b32 v42, v144, v39
	ds_bpermute_b32 v46, v144, v35
	v_cndmask_b32_e64 v39, -v39, v39, s37
	ds_bpermute_b32 v48, v144, v36
	ds_bpermute_b32 v43, v144, v40
	v_cndmask_b32_e64 v40, -v40, v40, s37
	s_waitcnt lgkmcnt(6)
	v_dual_add_f32 v24, v37, v24 :: v_dual_add_f32 v33, v38, v41
	ds_bpermute_b32 v34, v140, v24
	v_cndmask_b32_e64 v24, -v24, v24, s35
	s_waitcnt lgkmcnt(6)
	v_add_f32_e32 v37, v97, v45
	ds_bpermute_b32 v41, v144, v28
	s_waitcnt lgkmcnt(1)
	v_add_f32_e32 v24, v24, v34
	ds_bpermute_b32 v34, v140, v33
	v_cndmask_b32_e64 v33, -v33, v33, s35
	s_waitcnt lgkmcnt(0)
	s_delay_alu instid0(VALU_DEP_1)
	v_add_f32_e32 v33, v33, v34
	ds_bpermute_b32 v34, v142, v24
	v_cndmask_b32_e64 v24, -v24, v24, s36
	ds_bpermute_b32 v35, v142, v33
	v_cndmask_b32_e64 v36, -v33, v33, s36
	s_waitcnt lgkmcnt(1)
	v_add_f32_e32 v33, v24, v34
	v_add_f32_e32 v24, v39, v42
	v_cndmask_b32_e64 v42, -v27, v27, s37
	s_waitcnt lgkmcnt(0)
	v_add_f32_e32 v34, v36, v35
	ds_bpermute_b32 v35, v140, v24
	v_cndmask_b32_e64 v24, -v24, v24, s35
	s_waitcnt lgkmcnt(0)
	s_delay_alu instid0(VALU_DEP_1) | instskip(SKIP_3) | instid1(VALU_DEP_1)
	v_add_f32_e32 v24, v24, v35
	ds_bpermute_b32 v35, v142, v24
	v_cndmask_b32_e64 v24, -v24, v24, s36
	s_waitcnt lgkmcnt(0)
	v_add_f32_e32 v35, v24, v35
	v_add_f32_e32 v24, v40, v43
	v_cndmask_b32_e64 v43, -v28, v28, s37
	ds_bpermute_b32 v36, v140, v24
	v_cndmask_b32_e64 v24, -v24, v24, s35
	s_waitcnt lgkmcnt(0)
	s_delay_alu instid0(VALU_DEP_1) | instskip(SKIP_3) | instid1(VALU_DEP_1)
	v_add_f32_e32 v24, v24, v36
	ds_bpermute_b32 v36, v142, v24
	v_cndmask_b32_e64 v24, -v24, v24, s36
	s_waitcnt lgkmcnt(0)
	v_add_f32_e32 v36, v24, v36
	v_add_f32_e32 v24, v47, v44
	ds_bpermute_b32 v38, v140, v24
	v_cndmask_b32_e64 v24, -v24, v24, s35
	s_waitcnt lgkmcnt(0)
	s_delay_alu instid0(VALU_DEP_1) | instskip(SKIP_3) | instid1(VALU_DEP_1)
	v_add_f32_e32 v24, v24, v38
	ds_bpermute_b32 v38, v140, v37
	v_cndmask_b32_e64 v37, -v37, v37, s35
	s_waitcnt lgkmcnt(0)
	v_add_f32_e32 v37, v37, v38
	ds_bpermute_b32 v38, v142, v24
	v_cndmask_b32_e64 v24, -v24, v24, s36
	ds_bpermute_b32 v39, v142, v37
	v_cndmask_b32_e64 v40, -v37, v37, s36
	s_waitcnt lgkmcnt(1)
	v_add_f32_e32 v37, v24, v38
	v_add_f32_e32 v24, v98, v46
	s_waitcnt lgkmcnt(0)
	v_add_f32_e32 v38, v40, v39
	ds_bpermute_b32 v39, v140, v24
	v_cndmask_b32_e64 v24, -v24, v24, s35
	s_waitcnt lgkmcnt(0)
	s_delay_alu instid0(VALU_DEP_1) | instskip(SKIP_3) | instid1(VALU_DEP_1)
	v_add_f32_e32 v24, v24, v39
	ds_bpermute_b32 v39, v142, v24
	v_cndmask_b32_e64 v24, -v24, v24, s36
	s_waitcnt lgkmcnt(0)
	v_dual_add_f32 v39, v24, v39 :: v_dual_add_f32 v24, v99, v48
	ds_bpermute_b32 v48, v144, v125
	ds_bpermute_b32 v40, v140, v24
	v_cndmask_b32_e64 v24, -v24, v24, s35
	s_waitcnt lgkmcnt(0)
	s_delay_alu instid0(VALU_DEP_1) | instskip(SKIP_3) | instid1(VALU_DEP_1)
	v_add_f32_e32 v24, v24, v40
	ds_bpermute_b32 v40, v142, v24
	v_cndmask_b32_e64 v24, -v24, v24, s36
	s_waitcnt lgkmcnt(0)
	v_add_f32_e32 v40, v24, v40
	ds_bpermute_b32 v24, v144, v29
	v_cndmask_b32_e64 v29, -v29, v29, s37
	ds_store_b128 v146, v[33:36] offset:16384
	ds_store_b128 v146, v[37:40] offset:20480
	ds_bpermute_b32 v33, v144, v30
	ds_bpermute_b32 v37, v144, v26
	v_cndmask_b32_e64 v39, -v26, v26, s37
	v_cndmask_b32_e64 v30, -v30, v30, s37
	ds_bpermute_b32 v36, v144, v25
	v_cndmask_b32_e64 v38, -v25, v25, s37
	ds_bpermute_b32 v34, v144, v31
	ds_bpermute_b32 v40, v144, v27
	v_cndmask_b32_e64 v31, -v31, v31, s37
	ds_bpermute_b32 v35, v144, v32
	v_cndmask_b32_e64 v32, -v32, v32, s37
	s_waitcnt lgkmcnt(5)
	v_dual_add_f32 v24, v29, v24 :: v_dual_add_f32 v25, v30, v33
	ds_bpermute_b32 v26, v140, v24
	v_cndmask_b32_e64 v24, -v24, v24, s35
	s_waitcnt lgkmcnt(5)
	v_add_f32_e32 v29, v39, v37
	ds_bpermute_b32 v33, v144, v130
	v_cndmask_b32_e64 v37, -v130, v130, s37
	v_cndmask_b32_e64 v39, -v132, v132, s37
	v_add_f32_e32 v130, v172, v190
	s_waitcnt lgkmcnt(1)
	v_add_f32_e32 v24, v24, v26
	ds_bpermute_b32 v26, v140, v25
	v_cndmask_b32_e64 v25, -v25, v25, s35
	s_waitcnt lgkmcnt(0)
	s_delay_alu instid0(VALU_DEP_1)
	v_add_f32_e32 v25, v25, v26
	ds_bpermute_b32 v26, v142, v24
	v_cndmask_b32_e64 v24, -v24, v24, s36
	ds_bpermute_b32 v27, v142, v25
	v_cndmask_b32_e64 v25, -v25, v25, s36
	s_waitcnt lgkmcnt(1)
	v_add_f32_e32 v24, v24, v26
	v_add_f32_e32 v26, v31, v34
	ds_bpermute_b32 v34, v144, v131
	s_waitcnt lgkmcnt(1)
	v_add_f32_e32 v25, v25, v27
	ds_bpermute_b32 v27, v140, v26
	v_cndmask_b32_e64 v26, -v26, v26, s35
	s_waitcnt lgkmcnt(0)
	s_delay_alu instid0(VALU_DEP_1) | instskip(SKIP_3) | instid1(VALU_DEP_1)
	v_add_f32_e32 v26, v26, v27
	ds_bpermute_b32 v27, v142, v26
	v_cndmask_b32_e64 v26, -v26, v26, s36
	s_waitcnt lgkmcnt(0)
	v_add_f32_e32 v26, v26, v27
	v_add_f32_e32 v27, v32, v35
	v_cndmask_b32_e64 v35, -v129, v129, s37
	ds_bpermute_b32 v28, v140, v27
	v_cndmask_b32_e64 v27, -v27, v27, s35
	s_waitcnt lgkmcnt(0)
	s_delay_alu instid0(VALU_DEP_1) | instskip(SKIP_3) | instid1(VALU_DEP_1)
	v_add_f32_e32 v27, v27, v28
	ds_bpermute_b32 v28, v142, v27
	v_cndmask_b32_e64 v27, -v27, v27, s36
	s_waitcnt lgkmcnt(0)
	v_add_f32_e32 v27, v27, v28
	v_add_f32_e32 v28, v38, v36
	v_cndmask_b32_e64 v38, -v131, v131, s37
	v_add_f32_e32 v131, v174, v191
	ds_bpermute_b32 v36, v144, v132
	ds_bpermute_b32 v30, v140, v28
	v_cndmask_b32_e64 v28, -v28, v28, s35
	s_waitcnt lgkmcnt(0)
	s_delay_alu instid0(VALU_DEP_1) | instskip(SKIP_3) | instid1(VALU_DEP_1)
	v_add_f32_e32 v28, v28, v30
	ds_bpermute_b32 v30, v140, v29
	v_cndmask_b32_e64 v29, -v29, v29, s35
	s_waitcnt lgkmcnt(0)
	v_add_f32_e32 v29, v29, v30
	ds_bpermute_b32 v30, v142, v28
	v_cndmask_b32_e64 v28, -v28, v28, s36
	ds_bpermute_b32 v31, v142, v29
	v_cndmask_b32_e64 v29, -v29, v29, s36
	s_waitcnt lgkmcnt(1)
	v_add_f32_e32 v28, v28, v30
	s_waitcnt lgkmcnt(0)
	s_delay_alu instid0(VALU_DEP_2) | instskip(SKIP_3) | instid1(VALU_DEP_1)
	v_dual_add_f32 v30, v42, v40 :: v_dual_add_f32 v29, v29, v31
	ds_bpermute_b32 v31, v140, v30
	v_cndmask_b32_e64 v30, -v30, v30, s35
	s_waitcnt lgkmcnt(0)
	v_add_f32_e32 v30, v30, v31
	ds_bpermute_b32 v31, v142, v30
	v_cndmask_b32_e64 v30, -v30, v30, s36
	s_waitcnt lgkmcnt(0)
	s_delay_alu instid0(VALU_DEP_1) | instskip(SKIP_3) | instid1(VALU_DEP_1)
	v_dual_add_f32 v30, v30, v31 :: v_dual_add_f32 v31, v43, v41
	ds_bpermute_b32 v32, v140, v31
	v_cndmask_b32_e64 v31, -v31, v31, s35
	s_waitcnt lgkmcnt(0)
	v_add_f32_e32 v31, v31, v32
	ds_bpermute_b32 v32, v142, v31
	v_cndmask_b32_e64 v31, -v31, v31, s36
	s_waitcnt lgkmcnt(0)
	s_delay_alu instid0(VALU_DEP_1)
	v_add_f32_e32 v31, v31, v32
	ds_store_b128 v146, v[24:27] offset:24576
	ds_store_b128 v146, v[28:31] offset:28672
	ds_bpermute_b32 v24, v144, v133
	v_cndmask_b32_e64 v27, -v133, v133, s37
	ds_bpermute_b32 v25, v144, v134
	v_cndmask_b32_e64 v28, -v134, v134, s37
	;; [unrolled: 2-line block ×4, first 2 shown]
	ds_bpermute_b32 v32, v144, v129
	s_waitcnt lgkmcnt(0)
	s_barrier
	buffer_gl0_inv
	v_dual_add_f32 v129, v170, v189 :: v_dual_add_f32 v24, v27, v24
	v_add_f32_e32 v25, v28, v25
	ds_bpermute_b32 v27, v140, v24
	v_cndmask_b32_e64 v24, -v24, v24, s35
	s_waitcnt lgkmcnt(0)
	s_delay_alu instid0(VALU_DEP_1) | instskip(SKIP_3) | instid1(VALU_DEP_1)
	v_add_f32_e32 v24, v24, v27
	ds_bpermute_b32 v27, v140, v25
	v_cndmask_b32_e64 v25, -v25, v25, s35
	s_waitcnt lgkmcnt(0)
	v_add_f32_e32 v25, v25, v27
	ds_bpermute_b32 v27, v142, v24
	v_cndmask_b32_e64 v24, -v24, v24, s36
	ds_bpermute_b32 v28, v142, v25
	v_cndmask_b32_e64 v25, -v25, v25, s36
	s_waitcnt lgkmcnt(1)
	v_dual_add_f32 v105, v24, v27 :: v_dual_add_f32 v24, v29, v26
	s_waitcnt lgkmcnt(0)
	s_delay_alu instid0(VALU_DEP_2) | instskip(SKIP_3) | instid1(VALU_DEP_1)
	v_add_f32_e32 v106, v25, v28
	ds_bpermute_b32 v25, v140, v24
	v_cndmask_b32_e64 v24, -v24, v24, s35
	s_waitcnt lgkmcnt(0)
	v_add_f32_e32 v24, v24, v25
	ds_bpermute_b32 v25, v142, v24
	v_cndmask_b32_e64 v24, -v24, v24, s36
	s_waitcnt lgkmcnt(0)
	s_delay_alu instid0(VALU_DEP_1) | instskip(SKIP_3) | instid1(VALU_DEP_1)
	v_dual_add_f32 v107, v24, v25 :: v_dual_add_f32 v24, v31, v30
	ds_bpermute_b32 v25, v140, v24
	v_cndmask_b32_e64 v24, -v24, v24, s35
	s_waitcnt lgkmcnt(0)
	v_add_f32_e32 v24, v24, v25
	ds_bpermute_b32 v25, v142, v24
	v_cndmask_b32_e64 v24, -v24, v24, s36
	s_waitcnt lgkmcnt(0)
	s_delay_alu instid0(VALU_DEP_1) | instskip(SKIP_4) | instid1(VALU_DEP_1)
	v_add_f32_e32 v108, v24, v25
	v_dual_add_f32 v24, v35, v32 :: v_dual_add_f32 v25, v37, v33
	ds_bpermute_b32 v26, v140, v24
	v_cndmask_b32_e64 v24, -v24, v24, s35
	s_waitcnt lgkmcnt(0)
	v_add_f32_e32 v24, v24, v26
	ds_bpermute_b32 v26, v140, v25
	v_cndmask_b32_e64 v25, -v25, v25, s35
	s_waitcnt lgkmcnt(0)
	s_delay_alu instid0(VALU_DEP_1)
	v_add_f32_e32 v25, v25, v26
	ds_bpermute_b32 v26, v142, v24
	v_cndmask_b32_e64 v24, -v24, v24, s36
	ds_bpermute_b32 v27, v142, v25
	v_cndmask_b32_e64 v25, -v25, v25, s36
	s_waitcnt lgkmcnt(1)
	v_add_f32_e32 v109, v24, v26
	v_add_f32_e32 v24, v38, v34
	s_waitcnt lgkmcnt(0)
	v_add_f32_e32 v110, v25, v27
	ds_bpermute_b32 v25, v140, v24
	v_cndmask_b32_e64 v24, -v24, v24, s35
	s_waitcnt lgkmcnt(0)
	s_delay_alu instid0(VALU_DEP_1) | instskip(SKIP_3) | instid1(VALU_DEP_1)
	v_add_f32_e32 v24, v24, v25
	ds_bpermute_b32 v25, v142, v24
	v_cndmask_b32_e64 v24, -v24, v24, s36
	s_waitcnt lgkmcnt(0)
	v_dual_add_f32 v111, v24, v25 :: v_dual_add_f32 v24, v39, v36
	ds_bpermute_b32 v25, v140, v24
	v_cndmask_b32_e64 v24, -v24, v24, s35
	s_waitcnt lgkmcnt(0)
	s_delay_alu instid0(VALU_DEP_1) | instskip(SKIP_3) | instid1(VALU_DEP_1)
	v_add_f32_e32 v24, v24, v25
	ds_bpermute_b32 v25, v142, v24
	v_cndmask_b32_e64 v24, -v24, v24, s36
	s_waitcnt lgkmcnt(0)
	v_add_f32_e32 v112, v24, v25
	ds_load_b128 v[97:100], v138
	ds_load_b128 v[101:104], v138 offset:4096
	ds_load_b128 v[40:43], v138 offset:8192
	;; [unrolled: 1-line block ×7, first 2 shown]
	s_waitcnt lgkmcnt(0)
	s_barrier
	buffer_gl0_inv
	ds_store_b128 v146, v[105:108]
	ds_store_b128 v146, v[109:112] offset:4096
	v_cndmask_b32_e64 v106, -v125, v125, s37
	ds_bpermute_b32 v105, v144, v126
	v_cndmask_b32_e64 v109, -v126, v126, s37
	ds_bpermute_b32 v107, v144, v127
	v_cndmask_b32_e64 v110, -v127, v127, s37
	v_add_f32_e32 v48, v106, v48
	ds_bpermute_b32 v108, v144, v128
	v_cndmask_b32_e64 v111, -v128, v128, s37
	ds_bpermute_b32 v112, v144, v121
	v_cndmask_b32_e64 v121, -v121, v121, s37
	;; [unrolled: 2-line block ×6, first 2 shown]
	v_add_f32_e32 v248, v97, v101
	v_add_f32_e32 v252, v40, v44
	;; [unrolled: 1-line block ×3, first 2 shown]
	s_waitcnt lgkmcnt(7)
	v_add_f32_e32 v105, v109, v105
	v_add_f32_e32 v179, v24, v28
	;; [unrolled: 1-line block ×9, first 2 shown]
	s_waitcnt lgkmcnt(3)
	v_add_f32_e32 v48, v48, v106
	ds_bpermute_b32 v106, v140, v105
	v_cndmask_b32_e64 v105, -v105, v105, s35
	v_add_f32_e32 v254, v42, v46
	v_add_f32_e32 v177, v34, v38
	;; [unrolled: 1-line block ×12, first 2 shown]
	v_dual_add_f32 v154, v201, v205 :: v_dual_add_f32 v203, v251, v255
	s_delay_alu instid0(VALU_DEP_4) | instskip(NEXT) | instid1(VALU_DEP_3)
	v_add_f32_e32 v207, v178, v182
	v_add_f32_e32 v156, v202, v206
	s_waitcnt lgkmcnt(0)
	v_add_f32_e32 v105, v105, v106
	ds_bpermute_b32 v106, v142, v48
	v_cndmask_b32_e64 v48, -v48, v48, s36
	v_add_f32_e32 v158, v203, v207
	ds_bpermute_b32 v109, v142, v105
	v_cndmask_b32_e64 v128, -v105, v105, s36
	s_waitcnt lgkmcnt(1)
	v_dual_add_f32 v105, v48, v106 :: v_dual_add_f32 v48, v110, v107
	s_waitcnt lgkmcnt(0)
	s_delay_alu instid0(VALU_DEP_2) | instskip(SKIP_4) | instid1(VALU_DEP_1)
	v_add_f32_e32 v106, v128, v109
	v_add_f32_e32 v109, v122, v125
	ds_bpermute_b32 v107, v140, v48
	v_cndmask_b32_e64 v48, -v48, v48, s35
	s_waitcnt lgkmcnt(0)
	v_add_f32_e32 v48, v48, v107
	ds_bpermute_b32 v107, v142, v48
	v_cndmask_b32_e64 v48, -v48, v48, s36
	s_waitcnt lgkmcnt(0)
	s_delay_alu instid0(VALU_DEP_1) | instskip(SKIP_3) | instid1(VALU_DEP_1)
	v_dual_add_f32 v107, v48, v107 :: v_dual_add_f32 v48, v111, v108
	ds_bpermute_b32 v108, v140, v48
	v_cndmask_b32_e64 v48, -v48, v48, s35
	s_waitcnt lgkmcnt(0)
	v_add_f32_e32 v48, v48, v108
	ds_bpermute_b32 v108, v142, v48
	v_cndmask_b32_e64 v48, -v48, v48, s36
	s_waitcnt lgkmcnt(0)
	s_delay_alu instid0(VALU_DEP_1) | instskip(SKIP_4) | instid1(VALU_DEP_1)
	v_add_f32_e32 v108, v48, v108
	v_add_f32_e32 v48, v121, v112
	ds_bpermute_b32 v110, v140, v48
	v_cndmask_b32_e64 v48, -v48, v48, s35
	s_waitcnt lgkmcnt(0)
	v_add_f32_e32 v48, v48, v110
	ds_bpermute_b32 v110, v140, v109
	v_cndmask_b32_e64 v109, -v109, v109, s35
	s_waitcnt lgkmcnt(0)
	s_delay_alu instid0(VALU_DEP_1)
	v_add_f32_e32 v109, v109, v110
	ds_bpermute_b32 v110, v142, v48
	v_cndmask_b32_e64 v48, -v48, v48, s36
	ds_bpermute_b32 v111, v142, v109
	v_cndmask_b32_e64 v112, -v109, v109, s36
	s_waitcnt lgkmcnt(1)
	v_add_f32_e32 v109, v48, v110
	v_add_f32_e32 v48, v123, v126
	s_waitcnt lgkmcnt(0)
	v_add_f32_e32 v110, v112, v111
	ds_bpermute_b32 v111, v140, v48
	v_cndmask_b32_e64 v48, -v48, v48, s35
	s_waitcnt lgkmcnt(0)
	s_delay_alu instid0(VALU_DEP_1) | instskip(SKIP_3) | instid1(VALU_DEP_1)
	v_add_f32_e32 v48, v48, v111
	ds_bpermute_b32 v111, v142, v48
	v_cndmask_b32_e64 v48, -v48, v48, s36
	s_waitcnt lgkmcnt(0)
	v_add_f32_e32 v111, v48, v111
	v_add_f32_e32 v48, v124, v127
	ds_bpermute_b32 v112, v140, v48
	v_cndmask_b32_e64 v48, -v48, v48, s35
	s_waitcnt lgkmcnt(0)
	s_delay_alu instid0(VALU_DEP_1) | instskip(SKIP_3) | instid1(VALU_DEP_1)
	v_add_f32_e32 v48, v48, v112
	ds_bpermute_b32 v112, v142, v48
	v_cndmask_b32_e64 v48, -v48, v48, s36
	s_waitcnt lgkmcnt(0)
	v_add_f32_e32 v112, v48, v112
	ds_bpermute_b32 v48, v144, v117
	ds_store_b128 v146, v[105:108] offset:8192
	ds_store_b128 v146, v[109:112] offset:12288
	v_cndmask_b32_e64 v106, -v117, v117, s37
	ds_bpermute_b32 v105, v144, v118
	v_cndmask_b32_e64 v107, -v118, v118, s37
	ds_bpermute_b32 v108, v144, v119
	v_cndmask_b32_e64 v110, -v119, v119, s37
	ds_bpermute_b32 v109, v144, v120
	v_cndmask_b32_e64 v111, -v120, v120, s37
	ds_bpermute_b32 v112, v144, v113
	v_cndmask_b32_e64 v113, -v113, v113, s37
	ds_bpermute_b32 v117, v144, v114
	v_cndmask_b32_e64 v114, -v114, v114, s37
	ds_bpermute_b32 v118, v144, v115
	v_cndmask_b32_e64 v115, -v115, v115, s37
	ds_bpermute_b32 v119, v144, v116
	v_cndmask_b32_e64 v116, -v116, v116, s37
	s_waitcnt lgkmcnt(9)
	v_add_f32_e32 v48, v106, v48
	ds_bpermute_b32 v106, v140, v48
	s_waitcnt lgkmcnt(7)
	v_add_f32_e32 v105, v107, v105
	v_cndmask_b32_e64 v48, -v48, v48, s35
	s_waitcnt lgkmcnt(0)
	s_delay_alu instid0(VALU_DEP_1) | instskip(SKIP_3) | instid1(VALU_DEP_1)
	v_add_f32_e32 v48, v48, v106
	ds_bpermute_b32 v106, v140, v105
	v_cndmask_b32_e64 v105, -v105, v105, s35
	s_waitcnt lgkmcnt(0)
	v_add_f32_e32 v105, v105, v106
	ds_bpermute_b32 v106, v142, v48
	v_cndmask_b32_e64 v48, -v48, v48, s36
	ds_bpermute_b32 v107, v142, v105
	v_cndmask_b32_e64 v120, -v105, v105, s36
	s_waitcnt lgkmcnt(1)
	v_dual_add_f32 v105, v48, v106 :: v_dual_add_f32 v48, v110, v108
	s_waitcnt lgkmcnt(0)
	s_delay_alu instid0(VALU_DEP_2) | instskip(SKIP_3) | instid1(VALU_DEP_1)
	v_add_f32_e32 v106, v120, v107
	ds_bpermute_b32 v107, v140, v48
	v_cndmask_b32_e64 v48, -v48, v48, s35
	s_waitcnt lgkmcnt(0)
	v_add_f32_e32 v48, v48, v107
	ds_bpermute_b32 v107, v142, v48
	v_cndmask_b32_e64 v48, -v48, v48, s36
	s_waitcnt lgkmcnt(0)
	s_delay_alu instid0(VALU_DEP_1)
	v_dual_add_f32 v107, v48, v107 :: v_dual_add_f32 v48, v111, v109
	v_add_f32_e32 v109, v114, v117
	v_cndmask_b32_e64 v114, -v2, v2, s37
	ds_bpermute_b32 v108, v140, v48
	v_cndmask_b32_e64 v48, -v48, v48, s35
	s_waitcnt lgkmcnt(0)
	s_delay_alu instid0(VALU_DEP_1) | instskip(SKIP_3) | instid1(VALU_DEP_1)
	v_add_f32_e32 v48, v48, v108
	ds_bpermute_b32 v108, v142, v48
	v_cndmask_b32_e64 v48, -v48, v48, s36
	s_waitcnt lgkmcnt(0)
	v_add_f32_e32 v108, v48, v108
	v_add_f32_e32 v48, v113, v112
	v_cndmask_b32_e64 v113, -v1, v1, s37
	ds_bpermute_b32 v110, v140, v48
	v_cndmask_b32_e64 v48, -v48, v48, s35
	s_waitcnt lgkmcnt(0)
	s_delay_alu instid0(VALU_DEP_1) | instskip(SKIP_3) | instid1(VALU_DEP_1)
	v_add_f32_e32 v48, v48, v110
	ds_bpermute_b32 v110, v140, v109
	v_cndmask_b32_e64 v109, -v109, v109, s35
	s_waitcnt lgkmcnt(0)
	v_add_f32_e32 v109, v109, v110
	ds_bpermute_b32 v110, v142, v48
	v_cndmask_b32_e64 v48, -v48, v48, s36
	ds_bpermute_b32 v111, v142, v109
	v_cndmask_b32_e64 v112, -v109, v109, s36
	s_waitcnt lgkmcnt(1)
	v_add_f32_e32 v109, v48, v110
	v_add_f32_e32 v48, v115, v118
	v_cndmask_b32_e64 v115, -v3, v3, s37
	s_waitcnt lgkmcnt(0)
	v_add_f32_e32 v110, v112, v111
	ds_bpermute_b32 v111, v140, v48
	v_cndmask_b32_e64 v48, -v48, v48, s35
	s_waitcnt lgkmcnt(0)
	s_delay_alu instid0(VALU_DEP_1) | instskip(SKIP_3) | instid1(VALU_DEP_1)
	v_add_f32_e32 v48, v48, v111
	ds_bpermute_b32 v111, v142, v48
	v_cndmask_b32_e64 v48, -v48, v48, s36
	s_waitcnt lgkmcnt(0)
	v_add_f32_e32 v111, v48, v111
	v_add_f32_e32 v48, v116, v119
	ds_bpermute_b32 v112, v140, v48
	v_cndmask_b32_e64 v48, -v48, v48, s35
	s_waitcnt lgkmcnt(0)
	s_delay_alu instid0(VALU_DEP_1) | instskip(SKIP_3) | instid1(VALU_DEP_1)
	v_add_f32_e32 v48, v48, v112
	ds_bpermute_b32 v112, v142, v48
	v_cndmask_b32_e64 v48, -v48, v48, s36
	s_waitcnt lgkmcnt(0)
	v_add_f32_e32 v112, v48, v112
	ds_bpermute_b32 v48, v144, v4
	v_cndmask_b32_e64 v4, -v4, v4, s37
	ds_store_b128 v146, v[105:108] offset:16384
	ds_store_b128 v146, v[109:112] offset:20480
	ds_bpermute_b32 v105, v144, v5
	ds_bpermute_b32 v108, v144, v0
	v_cndmask_b32_e64 v112, -v0, v0, s37
	ds_bpermute_b32 v110, v144, v2
	v_cndmask_b32_e64 v5, -v5, v5, s37
	ds_bpermute_b32 v109, v144, v1
	ds_bpermute_b32 v106, v144, v6
	;; [unrolled: 1-line block ×3, first 2 shown]
	v_cndmask_b32_e64 v6, -v6, v6, s37
	ds_bpermute_b32 v107, v144, v7
	v_cndmask_b32_e64 v7, -v7, v7, s37
	v_add_f32_e32 v144, v192, v196
	s_mul_hi_u32 s37, s46, s15
	s_waitcnt lgkmcnt(6)
	v_dual_add_f32 v0, v4, v48 :: v_dual_add_f32 v1, v5, v105
	ds_bpermute_b32 v2, v140, v0
	v_cndmask_b32_e64 v0, -v0, v0, s35
	s_waitcnt lgkmcnt(0)
	s_delay_alu instid0(VALU_DEP_1) | instskip(SKIP_3) | instid1(VALU_DEP_1)
	v_dual_add_f32 v5, v113, v109 :: v_dual_add_f32 v0, v0, v2
	ds_bpermute_b32 v2, v140, v1
	v_cndmask_b32_e64 v1, -v1, v1, s35
	s_waitcnt lgkmcnt(0)
	v_add_f32_e32 v1, v1, v2
	ds_bpermute_b32 v2, v142, v0
	v_cndmask_b32_e64 v0, -v0, v0, s36
	ds_bpermute_b32 v3, v142, v1
	v_cndmask_b32_e64 v1, -v1, v1, s36
	s_waitcnt lgkmcnt(1)
	v_add_f32_e32 v0, v0, v2
	s_waitcnt lgkmcnt(0)
	s_delay_alu instid0(VALU_DEP_2) | instskip(SKIP_3) | instid1(VALU_DEP_1)
	v_dual_add_f32 v2, v6, v106 :: v_dual_add_f32 v1, v1, v3
	ds_bpermute_b32 v3, v140, v2
	v_cndmask_b32_e64 v2, -v2, v2, s35
	s_waitcnt lgkmcnt(0)
	v_add_f32_e32 v2, v2, v3
	ds_bpermute_b32 v3, v142, v2
	v_cndmask_b32_e64 v2, -v2, v2, s36
	s_waitcnt lgkmcnt(0)
	s_delay_alu instid0(VALU_DEP_1) | instskip(SKIP_4) | instid1(VALU_DEP_1)
	v_add_f32_e32 v2, v2, v3
	v_add_f32_e32 v3, v7, v107
	ds_bpermute_b32 v4, v140, v3
	v_cndmask_b32_e64 v3, -v3, v3, s35
	s_waitcnt lgkmcnt(0)
	v_add_f32_e32 v3, v3, v4
	ds_bpermute_b32 v4, v142, v3
	v_cndmask_b32_e64 v3, -v3, v3, s36
	s_waitcnt lgkmcnt(0)
	s_delay_alu instid0(VALU_DEP_1) | instskip(SKIP_4) | instid1(VALU_DEP_1)
	v_add_f32_e32 v3, v3, v4
	v_add_f32_e32 v4, v112, v108
	ds_bpermute_b32 v6, v140, v4
	v_cndmask_b32_e64 v4, -v4, v4, s35
	s_waitcnt lgkmcnt(0)
	v_add_f32_e32 v4, v4, v6
	ds_bpermute_b32 v6, v140, v5
	v_cndmask_b32_e64 v5, -v5, v5, s35
	s_waitcnt lgkmcnt(0)
	s_delay_alu instid0(VALU_DEP_1)
	v_add_f32_e32 v5, v5, v6
	ds_bpermute_b32 v6, v142, v4
	v_cndmask_b32_e64 v4, -v4, v4, s36
	ds_bpermute_b32 v7, v142, v5
	v_cndmask_b32_e64 v5, -v5, v5, s36
	s_waitcnt lgkmcnt(1)
	v_add_f32_e32 v4, v4, v6
	s_waitcnt lgkmcnt(0)
	s_delay_alu instid0(VALU_DEP_2) | instskip(SKIP_3) | instid1(VALU_DEP_1)
	v_dual_add_f32 v6, v114, v110 :: v_dual_add_f32 v5, v5, v7
	ds_bpermute_b32 v7, v140, v6
	v_cndmask_b32_e64 v6, -v6, v6, s35
	s_waitcnt lgkmcnt(0)
	v_add_f32_e32 v6, v6, v7
	ds_bpermute_b32 v7, v142, v6
	v_cndmask_b32_e64 v6, -v6, v6, s36
	s_waitcnt lgkmcnt(0)
	s_delay_alu instid0(VALU_DEP_1)
	v_add_f32_e32 v6, v6, v7
	v_add_f32_e32 v7, v115, v111
	ds_bpermute_b32 v48, v140, v7
	v_cndmask_b32_e64 v7, -v7, v7, s35
	s_load_b32 s35, s[0:1], 0x20
	s_mul_i32 s1, s47, s15
	s_waitcnt lgkmcnt(0)
	s_delay_alu instid0(VALU_DEP_1) | instskip(SKIP_3) | instid1(SALU_CYCLE_1)
	v_add_f32_e32 v7, v7, v48
	ds_bpermute_b32 v48, v142, v7
	v_cndmask_b32_e64 v7, -v7, v7, s36
	s_mul_i32 s36, s46, s48
	s_add_i32 s0, s37, s36
	s_delay_alu instid0(SALU_CYCLE_1) | instskip(SKIP_1) | instid1(SALU_CYCLE_1)
	s_add_i32 s1, s0, s1
	s_mul_i32 s0, s46, s15
	s_lshl_b64 s[0:1], s[0:1], 2
	s_delay_alu instid0(SALU_CYCLE_1)
	s_add_u32 s0, s42, s0
	s_addc_u32 s1, s43, s1
	s_waitcnt lgkmcnt(0)
	v_add_f32_e32 v7, v7, v48
	ds_store_b128 v146, v[0:3] offset:24576
	ds_store_b128 v146, v[4:7] offset:28672
	s_waitcnt lgkmcnt(0)
	s_barrier
	buffer_gl0_inv
	ds_load_b128 v[0:3], v138
	ds_load_b128 v[4:7], v138 offset:4096
	ds_load_b128 v[105:108], v138 offset:8192
	;; [unrolled: 1-line block ×7, first 2 shown]
	v_add_f32_e32 v48, v168, v188
	v_add_f32_e32 v146, v193, v197
	scratch_store_b32 off, v48, off offset:8 ; 4-byte Folded Spill
	v_add_f32_e32 v48, v48, v144
	s_clause 0x1
	scratch_store_b32 off, v48, off offset:216
	scratch_store_b32 off, v129, off offset:12
	v_add_f32_e32 v48, v129, v146
	s_clause 0x1
	scratch_store_b32 off, v48, off offset:220
	scratch_store_b32 off, v130, off offset:16
	s_waitcnt lgkmcnt(6)
	v_add_f32_e32 v183, v0, v4
	s_waitcnt lgkmcnt(4)
	v_add_f32_e32 v187, v105, v109
	;; [unrolled: 2-line block ×4, first 2 shown]
	v_dual_add_f32 v184, v1, v5 :: v_dual_add_f32 v171, v106, v110
	v_add_f32_e32 v143, v114, v118
	v_dual_add_f32 v151, v122, v126 :: v_dual_add_f32 v208, v183, v187
	s_delay_alu instid0(VALU_DEP_4)
	v_add_f32_e32 v212, v141, v149
	v_add_f32_e32 v48, v130, v148
	;; [unrolled: 1-line block ×7, first 2 shown]
	v_dual_add_f32 v213, v143, v151 :: v_dual_add_f32 v160, v208, v212
	s_clause 0x1
	scratch_store_b32 off, v48, off offset:224
	scratch_store_b32 off, v131, off offset:20
	v_add_f32_e32 v48, v131, v150
	v_dual_add_f32 v186, v3, v7 :: v_dual_add_f32 v139, v108, v112
	v_add_f32_e32 v147, v116, v120
	v_dual_add_f32 v155, v124, v128 :: v_dual_add_f32 v210, v185, v137
	v_add_f32_e32 v214, v145, v153
	v_add_f32_e32 v162, v209, v213
	scratch_store_b32 off, v48, off offset:228 ; 4-byte Folded Spill
	v_dual_add_f32 v48, v152, v160 :: v_dual_add_f32 v211, v186, v139
	v_dual_add_f32 v215, v147, v155 :: v_dual_add_f32 v164, v210, v214
	scratch_store_b32 off, v48, off offset:232 ; 4-byte Folded Spill
	v_add_f32_e32 v48, v154, v162
	v_add_f32_e32 v166, v211, v215
	scratch_store_b32 off, v48, off offset:236 ; 4-byte Folded Spill
	v_add_f32_e32 v48, v156, v164
	scratch_store_b32 off, v48, off offset:240 ; 4-byte Folded Spill
	;; [unrolled: 2-line block ×3, first 2 shown]
	s_and_saveexec_b32 s15, s33
	s_cbranch_execz .LBB12_66
; %bb.65:
	v_add_f32_e32 v48, v174, v191
	v_dual_add_f32 v129, v158, v166 :: v_dual_add_f32 v130, v156, v164
	v_dual_add_f32 v131, v154, v162 :: v_dual_add_f32 v132, v152, v160
	s_delay_alu instid0(VALU_DEP_3) | instskip(NEXT) | instid1(VALU_DEP_1)
	v_add_f32_e32 v48, v48, v150
	v_add_f32_e32 v48, v48, v129
	;; [unrolled: 1-line block ×3, first 2 shown]
	s_delay_alu instid0(VALU_DEP_1) | instskip(NEXT) | instid1(VALU_DEP_1)
	v_add_f32_e32 v129, v129, v148
	v_dual_add_f32 v129, v129, v130 :: v_dual_add_f32 v130, v170, v189
	s_delay_alu instid0(VALU_DEP_1) | instskip(NEXT) | instid1(VALU_DEP_1)
	v_add_f32_e32 v130, v130, v146
	v_dual_add_f32 v130, v130, v131 :: v_dual_add_f32 v131, v168, v188
	s_delay_alu instid0(VALU_DEP_1) | instskip(NEXT) | instid1(VALU_DEP_1)
	v_add_f32_e32 v131, v131, v144
	v_add_f32_e32 v133, v131, v132
	v_dual_mul_f32 v132, s35, v48 :: v_dual_mul_f32 v131, s35, v129
	s_delay_alu instid0(VALU_DEP_2)
	v_dual_mul_f32 v130, s35, v130 :: v_dual_mul_f32 v129, s35, v133
	global_store_b128 v157, v[129:132], s[0:1]
.LBB12_66:
	s_or_b32 exec_lo, exec_lo, s15
	v_dual_sub_f32 v157, v89, v93 :: v_dual_sub_f32 v48, v16, v20
	v_dual_sub_f32 v159, v90, v94 :: v_dual_sub_f32 v132, v8, v12
	;; [unrolled: 1-line block ×3, first 2 shown]
	v_sub_f32_e32 v73, v73, v77
	v_dual_sub_f32 v65, v65, v69 :: v_dual_sub_f32 v40, v40, v44
	v_dual_sub_f32 v57, v57, v61 :: v_dual_sub_f32 v8, v32, v36
	;; [unrolled: 1-line block ×19, first 2 shown]
	v_sub_f32_e32 v6, v107, v111
	v_dual_sub_f32 v43, v43, v47 :: v_dual_sub_f32 v4, v105, v109
	v_dual_sub_f32 v9, v33, v37 :: v_dual_sub_f32 v138, v114, v118
	;; [unrolled: 1-line block ×5, first 2 shown]
	v_dual_add_f32 v69, v157, v165 :: v_dual_add_f32 v82, v74, v66
	v_dual_add_f32 v77, v48, v132 :: v_dual_add_f32 v86, v58, v54
	;; [unrolled: 1-line block ×3, first 2 shown]
	s_delay_alu instid0(VALU_DEP_4)
	v_dual_add_f32 v85, v57, v53 :: v_dual_add_f32 v96, v11, v15
	v_dual_sub_f32 v1, v1, v5 :: v_dual_sub_f32 v122, v122, v126
	v_dual_sub_f32 v3, v3, v7 :: v_dual_sub_f32 v124, v124, v128
	v_dual_sub_f32 v5, v106, v110 :: v_dual_add_f32 v70, v159, v167
	v_dual_sub_f32 v121, v121, v125 :: v_dual_add_f32 v80, v131, v135
	;; [unrolled: 1-line block ×3, first 2 shown]
	v_dual_add_f32 v71, v161, v169 :: v_dual_add_f32 v84, v76, v68
	v_dual_add_f32 v79, v130, v134 :: v_dual_add_f32 v88, v60, v56
	;; [unrolled: 1-line block ×6, first 2 shown]
	v_dual_sub_f32 v7, v108, v112 :: v_dual_add_f32 v72, v163, v173
	v_dual_add_f32 v97, v0, v4 :: v_dual_add_f32 v18, v71, v79
	v_dual_add_f32 v101, v136, v121 :: v_dual_add_f32 v104, v142, v124
	;; [unrolled: 1-line block ×3, first 2 shown]
	s_delay_alu instid0(VALU_DEP_2)
	v_dual_add_f32 v21, v82, v86 :: v_dual_add_f32 v28, v97, v101
	v_dual_add_f32 v25, v90, v94 :: v_dual_add_f32 v32, v16, v20
	v_dual_add_f32 v89, v61, v40 :: v_dual_add_f32 v100, v3, v7
	v_dual_add_f32 v93, v8, v12 :: v_dual_add_f32 v102, v138, v122
	v_add_f32_e32 v27, v92, v96
	scratch_store_b32 off, v32, off offset:248 ; 4-byte Folded Spill
	v_dual_add_f32 v32, v17, v21 :: v_dual_add_f32 v91, v63, v42
	v_dual_add_f32 v98, v1, v5 :: v_dual_add_f32 v103, v140, v123
	;; [unrolled: 1-line block ×3, first 2 shown]
	s_delay_alu instid0(VALU_DEP_3) | instskip(NEXT) | instid1(VALU_DEP_3)
	v_dual_add_f32 v26, v91, v95 :: v_dual_add_f32 v23, v84, v88
	v_dual_add_f32 v30, v99, v103 :: v_dual_add_f32 v31, v100, v104
	scratch_store_b32 off, v32, off offset:252 ; 4-byte Folded Spill
	v_add_f32_e32 v32, v18, v22
	v_add_f32_e32 v29, v98, v102
	scratch_store_b32 off, v32, off offset:256 ; 4-byte Folded Spill
	v_add_f32_e32 v32, v19, v23
	scratch_store_b32 off, v32, off offset:260 ; 4-byte Folded Spill
	;; [unrolled: 2-line block ×6, first 2 shown]
	s_and_saveexec_b32 s15, s31
	s_cbranch_execz .LBB12_68
; %bb.67:
	v_add_f32_e32 v32, v16, v20
	v_dual_add_f32 v33, v24, v28 :: v_dual_add_f32 v34, v25, v29
	v_dual_add_f32 v35, v26, v30 :: v_dual_add_f32 v36, v27, v31
	s_delay_alu instid0(VALU_DEP_2) | instskip(SKIP_1) | instid1(VALU_DEP_1)
	v_add_f32_e32 v32, v32, v33
	v_add_f32_e32 v33, v17, v21
	;; [unrolled: 1-line block ×4, first 2 shown]
	s_delay_alu instid0(VALU_DEP_2) | instskip(NEXT) | instid1(VALU_DEP_2)
	v_dual_mul_f32 v32, s35, v32 :: v_dual_mul_f32 v33, s35, v33
	v_add_f32_e32 v34, v34, v35
	v_add_f32_e32 v35, v19, v23
	s_delay_alu instid0(VALU_DEP_1)
	v_add_f32_e32 v35, v35, v36
	scratch_load_b32 v36, off, off offset:212 ; 4-byte Folded Reload
	v_dual_mul_f32 v34, s35, v34 :: v_dual_mul_f32 v35, s35, v35
	s_waitcnt vmcnt(0)
	global_store_b128 v36, v[32:35], s[0:1]
.LBB12_68:
	s_or_b32 exec_lo, exec_lo, s15
	v_dual_sub_f32 v105, v216, v220 :: v_dual_sub_f32 v106, v217, v221
	v_dual_sub_f32 v109, v224, v228 :: v_dual_sub_f32 v110, v225, v229
	;; [unrolled: 1-line block ×6, first 2 shown]
	v_sub_f32_e32 v217, v248, v252
	v_dual_sub_f32 v179, v175, v179 :: v_dual_sub_f32 v180, v176, v180
	v_dual_sub_f32 v107, v218, v222 :: v_dual_sub_f32 v108, v219, v223
	v_dual_sub_f32 v218, v249, v253 :: v_dual_sub_f32 v171, v184, v171
	v_dual_add_f32 v36, v113, v117 :: v_dual_add_f32 v33, v106, v110
	s_delay_alu instid0(VALU_DEP_4)
	v_dual_add_f32 v44, v217, v179 :: v_dual_add_f32 v39, v116, v120
	v_add_f32_e32 v37, v114, v118
	v_sub_f32_e32 v143, v143, v151
	v_dual_sub_f32 v111, v226, v230 :: v_dual_sub_f32 v112, v227, v231
	v_dual_sub_f32 v219, v250, v254 :: v_dual_sub_f32 v220, v251, v255
	;; [unrolled: 1-line block ×3, first 2 shown]
	v_dual_sub_f32 v221, v178, v182 :: v_dual_add_f32 v32, v105, v109
	s_delay_alu instid0(VALU_DEP_4) | instskip(NEXT) | instid1(VALU_DEP_3)
	v_dual_sub_f32 v137, v185, v137 :: v_dual_add_f32 v34, v107, v111
	v_dual_sub_f32 v139, v186, v139 :: v_dual_add_f32 v46, v219, v181
	;; [unrolled: 1-line block ×3, first 2 shown]
	v_dual_add_f32 v45, v218, v180 :: v_dual_add_f32 v238, v33, v37
	v_dual_sub_f32 v145, v145, v153 :: v_dual_add_f32 v50, v171, v143
	v_sub_f32_e32 v147, v147, v155
	v_add_f32_e32 v47, v220, v221
	v_add_f32_e32 v237, v32, v36
	s_delay_alu instid0(VALU_DEP_4) | instskip(SKIP_3) | instid1(VALU_DEP_4)
	v_add_f32_e32 v51, v137, v145
	v_dual_add_f32 v242, v45, v50 :: v_dual_add_f32 v35, v108, v112
	v_dual_add_f32 v52, v139, v147 :: v_dual_add_f32 v49, v222, v141
	v_add_f32_e32 v239, v34, v38
	v_add_f32_e32 v243, v46, v51
	s_delay_alu instid0(VALU_DEP_4) | instskip(NEXT) | instid1(VALU_DEP_4)
	v_add_f32_e32 v240, v35, v39
	v_dual_add_f32 v244, v47, v52 :: v_dual_add_f32 v241, v44, v49
	s_and_saveexec_b32 s15, s30
	s_cbranch_execz .LBB12_70
; %bb.69:
	scratch_load_b32 v149, off, off offset:208 ; 4-byte Folded Reload
	v_dual_add_f32 v125, v237, v241 :: v_dual_add_f32 v126, v238, v242
	v_dual_add_f32 v127, v239, v243 :: v_dual_add_f32 v128, v240, v244
	s_delay_alu instid0(VALU_DEP_2) | instskip(NEXT) | instid1(VALU_DEP_2)
	v_dual_mul_f32 v125, s35, v125 :: v_dual_mul_f32 v126, s35, v126
	v_dual_mul_f32 v127, s35, v127 :: v_dual_mul_f32 v128, s35, v128
	s_waitcnt vmcnt(0)
	global_store_b128 v149, v[125:128], s[0:1]
.LBB12_70:
	s_or_b32 exec_lo, exec_lo, s15
	v_dual_sub_f32 v151, v159, v167 :: v_dual_sub_f32 v130, v130, v134
	v_dual_sub_f32 v129, v129, v133 :: v_dual_sub_f32 v228, v11, v15
	v_dual_sub_f32 v133, v74, v66 :: v_dual_sub_f32 v226, v9, v13
	v_sub_f32_e32 v159, v58, v54
	v_dual_sub_f32 v149, v157, v165 :: v_dual_sub_f32 v48, v48, v132
	v_sub_f32_e32 v155, v163, v173
	v_dual_sub_f32 v131, v131, v135 :: v_dual_sub_f32 v132, v73, v65
	v_dual_sub_f32 v135, v76, v68 :: v_dual_sub_f32 v234, v1, v5
	;; [unrolled: 1-line block ×3, first 2 shown]
	v_dual_sub_f32 v163, v60, v56 :: v_dual_add_f32 v58, v151, v129
	v_sub_f32_e32 v225, v8, v12
	v_sub_f32_e32 v8, v136, v121
	v_dual_sub_f32 v167, v62, v41 :: v_dual_add_f32 v62, v133, v159
	v_sub_f32_e32 v173, v64, v43
	v_sub_f32_e32 v11, v142, v124
	v_dual_sub_f32 v153, v161, v169 :: v_dual_sub_f32 v134, v75, v67
	v_dual_sub_f32 v227, v10, v14 :: v_dual_sub_f32 v10, v140, v123
	s_delay_alu instid0(VALU_DEP_3)
	v_dual_add_f32 v128, v236, v11 :: v_dual_sub_f32 v9, v138, v122
	v_add_f32_e32 v122, v167, v226
	v_dual_sub_f32 v161, v59, v55 :: v_dual_add_f32 v124, v173, v228
	v_dual_sub_f32 v165, v61, v40 :: v_dual_add_f32 v60, v155, v131
	v_add_f32_e32 v59, v153, v130
	v_add_f32_e32 v61, v132, v157
	s_delay_alu instid0(VALU_DEP_4) | instskip(SKIP_3) | instid1(VALU_DEP_3)
	v_dual_add_f32 v56, v124, v128 :: v_dual_sub_f32 v169, v63, v42
	v_dual_add_f32 v126, v234, v9 :: v_dual_add_f32 v57, v149, v48
	v_add_f32_e32 v63, v134, v161
	v_dual_sub_f32 v235, v2, v6 :: v_dual_add_f32 v64, v135, v163
	v_dual_add_f32 v54, v122, v126 :: v_dual_sub_f32 v233, v0, v4
	s_delay_alu instid0(VALU_DEP_4) | instskip(SKIP_2) | instid1(VALU_DEP_4)
	v_add_f32_e32 v40, v57, v61
	v_add_f32_e32 v121, v165, v225
	;; [unrolled: 1-line block ×3, first 2 shown]
	v_dual_add_f32 v42, v59, v63 :: v_dual_add_f32 v125, v233, v8
	v_add_f32_e32 v127, v235, v10
	v_add_f32_e32 v41, v58, v62
	;; [unrolled: 1-line block ×3, first 2 shown]
	s_delay_alu instid0(VALU_DEP_4) | instskip(NEXT) | instid1(VALU_DEP_4)
	v_add_f32_e32 v53, v121, v125
	v_add_f32_e32 v55, v123, v127
	s_and_saveexec_b32 s15, s29
	s_cbranch_execz .LBB12_72
; %bb.71:
	scratch_load_b32 v4, off, off offset:204 ; 4-byte Folded Reload
	v_dual_add_f32 v0, v40, v53 :: v_dual_add_f32 v1, v41, v54
	v_dual_add_f32 v2, v42, v55 :: v_dual_add_f32 v3, v43, v56
	s_delay_alu instid0(VALU_DEP_2) | instskip(NEXT) | instid1(VALU_DEP_2)
	v_dual_mul_f32 v0, s35, v0 :: v_dual_mul_f32 v1, s35, v1
	v_dual_mul_f32 v2, s35, v2 :: v_dual_mul_f32 v3, s35, v3
	s_waitcnt vmcnt(0)
	global_store_b128 v4, v[0:3], s[0:1]
.LBB12_72:
	s_or_b32 exec_lo, exec_lo, s15
	v_dual_sub_f32 v168, v168, v188 :: v_dual_sub_f32 v185, v193, v197
	v_sub_f32_e32 v184, v192, v196
	v_dual_sub_f32 v170, v170, v189 :: v_dual_sub_f32 v187, v195, v199
	v_dual_sub_f32 v172, v172, v190 :: v_dual_sub_f32 v189, v201, v205
	;; [unrolled: 1-line block ×5, first 2 shown]
	v_add_f32_e32 v65, v168, v184
	v_sub_f32_e32 v192, v208, v212
	v_sub_f32_e32 v194, v210, v214
	;; [unrolled: 1-line block ×3, first 2 shown]
	v_dual_add_f32 v66, v170, v185 :: v_dual_add_f32 v67, v172, v186
	v_add_f32_e32 v68, v174, v187
	s_delay_alu instid0(VALU_DEP_4) | instskip(NEXT) | instid1(VALU_DEP_4)
	v_dual_add_f32 v74, v189, v193 :: v_dual_add_f32 v75, v190, v194
	v_dual_add_f32 v73, v188, v192 :: v_dual_add_f32 v76, v191, v195
	s_and_saveexec_b32 s15, s28
	s_cbranch_execz .LBB12_74
; %bb.73:
	scratch_load_b32 v4, off, off offset:200 ; 4-byte Folded Reload
	v_dual_add_f32 v0, v65, v73 :: v_dual_add_f32 v1, v66, v74
	v_dual_add_f32 v2, v67, v75 :: v_dual_add_f32 v3, v68, v76
	s_delay_alu instid0(VALU_DEP_2) | instskip(NEXT) | instid1(VALU_DEP_2)
	v_dual_mul_f32 v0, s35, v0 :: v_dual_mul_f32 v1, s35, v1
	v_dual_mul_f32 v2, s35, v2 :: v_dual_mul_f32 v3, s35, v3
	s_waitcnt vmcnt(0)
	global_store_b128 v4, v[0:3], s[0:1]
.LBB12_74:
	s_or_b32 exec_lo, exec_lo, s15
	v_dual_sub_f32 v183, v69, v77 :: v_dual_sub_f32 v196, v70, v78
	v_dual_sub_f32 v197, v71, v79 :: v_dual_sub_f32 v198, v72, v80
	;; [unrolled: 1-line block ×8, first 2 shown]
	v_dual_add_f32 v81, v183, v205 :: v_dual_add_f32 v82, v196, v206
	v_dual_add_f32 v83, v197, v207 :: v_dual_add_f32 v84, v198, v208
	s_delay_alu instid0(VALU_DEP_4) | instskip(NEXT) | instid1(VALU_DEP_4)
	v_dual_add_f32 v89, v209, v175 :: v_dual_add_f32 v90, v210, v176
	v_dual_add_f32 v91, v211, v177 :: v_dual_add_f32 v92, v212, v178
	s_and_saveexec_b32 s15, s27
	s_cbranch_execz .LBB12_76
; %bb.75:
	scratch_load_b32 v4, off, off offset:196 ; 4-byte Folded Reload
	v_dual_add_f32 v0, v81, v89 :: v_dual_add_f32 v1, v82, v90
	v_dual_add_f32 v2, v83, v91 :: v_dual_add_f32 v3, v84, v92
	s_delay_alu instid0(VALU_DEP_2) | instskip(NEXT) | instid1(VALU_DEP_2)
	v_dual_mul_f32 v0, s35, v0 :: v_dual_mul_f32 v1, s35, v1
	v_dual_mul_f32 v2, s35, v2 :: v_dual_mul_f32 v3, s35, v3
	s_waitcnt vmcnt(0)
	global_store_b128 v4, v[0:3], s[0:1]
.LBB12_76:
	s_or_b32 exec_lo, exec_lo, s15
	v_dual_sub_f32 v200, v107, v111 :: v_dual_sub_f32 v201, v108, v112
	v_dual_sub_f32 v215, v115, v119 :: v_dual_sub_f32 v216, v116, v120
	;; [unrolled: 1-line block ×5, first 2 shown]
	s_delay_alu instid0(VALU_DEP_4) | instskip(SKIP_4) | instid1(VALU_DEP_4)
	v_dual_sub_f32 v219, v219, v181 :: v_dual_add_f32 v100, v201, v216
	v_dual_sub_f32 v229, v222, v141 :: v_dual_sub_f32 v230, v171, v143
	v_dual_sub_f32 v231, v137, v145 :: v_dual_sub_f32 v232, v139, v147
	v_sub_f32_e32 v220, v220, v221
	v_dual_add_f32 v97, v182, v213 :: v_dual_add_f32 v98, v199, v214
	v_dual_add_f32 v99, v200, v215 :: v_dual_add_f32 v106, v218, v230
	s_delay_alu instid0(VALU_DEP_4) | instskip(NEXT) | instid1(VALU_DEP_4)
	v_add_f32_e32 v107, v219, v231
	v_dual_add_f32 v105, v217, v229 :: v_dual_add_f32 v108, v220, v232
	s_and_saveexec_b32 s15, s24
	s_cbranch_execz .LBB12_78
; %bb.77:
	scratch_load_b32 v4, off, off offset:188 ; 4-byte Folded Reload
	v_dual_add_f32 v0, v97, v105 :: v_dual_add_f32 v1, v98, v106
	v_dual_add_f32 v2, v99, v107 :: v_dual_add_f32 v3, v100, v108
	s_delay_alu instid0(VALU_DEP_2) | instskip(NEXT) | instid1(VALU_DEP_2)
	v_dual_mul_f32 v0, s35, v0 :: v_dual_mul_f32 v1, s35, v1
	v_dual_mul_f32 v2, s35, v2 :: v_dual_mul_f32 v3, s35, v3
	s_waitcnt vmcnt(0)
	global_store_b128 v4, v[0:3], s[0:1]
.LBB12_78:
	s_or_b32 exec_lo, exec_lo, s15
	v_dual_sub_f32 v180, v149, v48 :: v_dual_sub_f32 v221, v132, v157
	v_dual_sub_f32 v202, v151, v129 :: v_dual_sub_f32 v203, v153, v130
	;; [unrolled: 1-line block ×6, first 2 shown]
	v_dual_sub_f32 v228, v173, v228 :: v_dual_add_f32 v113, v180, v221
	v_dual_sub_f32 v233, v233, v8 :: v_dual_sub_f32 v234, v234, v9
	v_sub_f32_e32 v236, v236, v11
	v_dual_add_f32 v114, v202, v222 :: v_dual_add_f32 v115, v203, v223
	v_dual_add_f32 v116, v204, v224 :: v_dual_add_f32 v119, v227, v235
	s_delay_alu instid0(VALU_DEP_4) | instskip(NEXT) | instid1(VALU_DEP_4)
	v_dual_add_f32 v117, v225, v233 :: v_dual_add_f32 v118, v226, v234
	v_add_f32_e32 v120, v228, v236
	s_and_saveexec_b32 s15, vcc_lo
	s_cbranch_execz .LBB12_80
; %bb.79:
	scratch_load_b32 v4, off, off offset:160 ; 4-byte Folded Reload
	v_dual_add_f32 v0, v113, v117 :: v_dual_add_f32 v1, v114, v118
	v_dual_add_f32 v2, v115, v119 :: v_dual_add_f32 v3, v116, v120
	s_delay_alu instid0(VALU_DEP_2) | instskip(NEXT) | instid1(VALU_DEP_2)
	v_dual_mul_f32 v0, s35, v0 :: v_dual_mul_f32 v1, s35, v1
	v_dual_mul_f32 v2, s35, v2 :: v_dual_mul_f32 v3, s35, v3
	s_waitcnt vmcnt(0)
	global_store_b128 v4, v[0:3], s[0:1]
.LBB12_80:
	s_or_b32 exec_lo, exec_lo, s15
	scratch_load_b32 v0, off, off offset:8  ; 4-byte Folded Reload
	v_sub_f32_e32 v109, v152, v160
	v_dual_sub_f32 v111, v156, v164 :: v_dual_sub_f32 v110, v154, v162
	s_waitcnt vmcnt(0)
	v_dual_sub_f32 v112, v158, v166 :: v_dual_sub_f32 v101, v0, v144
	scratch_load_b32 v0, off, off offset:12 ; 4-byte Folded Reload
	s_waitcnt vmcnt(0)
	v_sub_f32_e32 v102, v0, v146
	scratch_load_b32 v0, off, off offset:16 ; 4-byte Folded Reload
	s_waitcnt vmcnt(0)
	v_sub_f32_e32 v103, v0, v148
	;; [unrolled: 3-line block ×3, first 2 shown]
	s_and_saveexec_b32 s15, s7
	s_cbranch_execz .LBB12_82
; %bb.81:
	scratch_load_b32 v4, off, off offset:164 ; 4-byte Folded Reload
	v_dual_add_f32 v0, v101, v109 :: v_dual_add_f32 v1, v102, v110
	v_dual_add_f32 v2, v103, v111 :: v_dual_add_f32 v3, v104, v112
	s_delay_alu instid0(VALU_DEP_2) | instskip(NEXT) | instid1(VALU_DEP_2)
	v_dual_mul_f32 v0, s35, v0 :: v_dual_mul_f32 v1, s35, v1
	v_dual_mul_f32 v2, s35, v2 :: v_dual_mul_f32 v3, s35, v3
	s_waitcnt vmcnt(0)
	global_store_b128 v4, v[0:3], s[0:1]
.LBB12_82:
	s_or_b32 exec_lo, exec_lo, s15
	v_dual_sub_f32 v85, v16, v20 :: v_dual_sub_f32 v86, v17, v21
	v_dual_sub_f32 v87, v18, v22 :: v_dual_sub_f32 v88, v19, v23
	v_dual_sub_f32 v93, v24, v28 :: v_dual_sub_f32 v94, v25, v29
	v_dual_sub_f32 v95, v26, v30 :: v_dual_sub_f32 v96, v27, v31
	s_and_saveexec_b32 s7, s12
	s_cbranch_execz .LBB12_84
; %bb.83:
	scratch_load_b32 v4, off, off offset:168 ; 4-byte Folded Reload
	v_dual_add_f32 v0, v85, v93 :: v_dual_add_f32 v1, v86, v94
	v_dual_add_f32 v2, v87, v95 :: v_dual_add_f32 v3, v88, v96
	s_delay_alu instid0(VALU_DEP_2) | instskip(NEXT) | instid1(VALU_DEP_2)
	v_dual_mul_f32 v0, s35, v0 :: v_dual_mul_f32 v1, s35, v1
	v_dual_mul_f32 v2, s35, v2 :: v_dual_mul_f32 v3, s35, v3
	s_waitcnt vmcnt(0)
	global_store_b128 v4, v[0:3], s[0:1]
.LBB12_84:
	s_or_b32 exec_lo, exec_lo, s7
	v_dual_sub_f32 v69, v32, v36 :: v_dual_sub_f32 v70, v33, v37
	v_dual_sub_f32 v71, v34, v38 :: v_dual_sub_f32 v72, v35, v39
	v_dual_sub_f32 v77, v44, v49 :: v_dual_sub_f32 v78, v45, v50
	v_dual_sub_f32 v79, v46, v51 :: v_dual_sub_f32 v80, v47, v52
	;; [unrolled: 17-line block ×5, first 2 shown]
	s_and_saveexec_b32 s7, s26
	s_cbranch_execz .LBB12_92
; %bb.91:
	scratch_load_b64 v[0:1], off, off offset:172 ; 8-byte Folded Reload
	v_dual_add_f32 v2, v18, v22 :: v_dual_add_f32 v3, v19, v23
	v_mov_b32_e32 v5, 0
	s_waitcnt vmcnt(0)
	s_delay_alu instid0(VALU_DEP_2) | instskip(NEXT) | instid1(VALU_DEP_3)
	v_dual_add_f32 v1, v17, v21 :: v_dual_mul_f32 v2, s35, v2
	v_mul_f32_e32 v3, s35, v3
	s_delay_alu instid0(VALU_DEP_2) | instskip(SKIP_1) | instid1(VALU_DEP_2)
	v_dual_mul_f32 v1, s35, v1 :: v_dual_mov_b32 v4, v0
	v_add_f32_e32 v0, v16, v20
	v_lshlrev_b64 v[4:5], 4, v[4:5]
	s_delay_alu instid0(VALU_DEP_2) | instskip(NEXT) | instid1(VALU_DEP_2)
	v_mul_f32_e32 v0, s35, v0
	v_add_co_u32 v4, vcc_lo, s0, v4
	s_delay_alu instid0(VALU_DEP_3)
	v_add_co_ci_u32_e32 v5, vcc_lo, s1, v5, vcc_lo
	global_store_b128 v[4:5], v[0:3], off
.LBB12_92:
	s_or_b32 exec_lo, exec_lo, s7
	v_dual_sub_f32 v28, v182, v213 :: v_dual_sub_f32 v29, v199, v214
	v_dual_sub_f32 v30, v200, v215 :: v_dual_sub_f32 v31, v201, v216
	v_dual_sub_f32 v36, v217, v229 :: v_dual_sub_f32 v37, v218, v230
	v_dual_sub_f32 v38, v219, v231 :: v_dual_sub_f32 v39, v220, v232
	s_and_saveexec_b32 s7, s19
	s_cbranch_execz .LBB12_94
; %bb.93:
	scratch_load_b64 v[0:1], off, off offset:152 ; 8-byte Folded Reload
	v_dual_add_f32 v2, v30, v38 :: v_dual_add_f32 v3, v31, v39
	v_mov_b32_e32 v5, 0
	s_waitcnt vmcnt(0)
	s_delay_alu instid0(VALU_DEP_2) | instskip(NEXT) | instid1(VALU_DEP_3)
	v_dual_add_f32 v1, v29, v37 :: v_dual_mul_f32 v2, s35, v2
	v_mul_f32_e32 v3, s35, v3
	s_delay_alu instid0(VALU_DEP_2) | instskip(SKIP_1) | instid1(VALU_DEP_2)
	v_dual_mul_f32 v1, s35, v1 :: v_dual_mov_b32 v4, v0
	v_add_f32_e32 v0, v28, v36
	v_lshlrev_b64 v[4:5], 4, v[4:5]
	s_delay_alu instid0(VALU_DEP_2) | instskip(NEXT) | instid1(VALU_DEP_2)
	v_mul_f32_e32 v0, s35, v0
	v_add_co_u32 v4, vcc_lo, s0, v4
	s_delay_alu instid0(VALU_DEP_3)
	v_add_co_ci_u32_e32 v5, vcc_lo, s1, v5, vcc_lo
	global_store_b128 v[4:5], v[0:3], off
.LBB12_94:
	s_or_b32 exec_lo, exec_lo, s7
	v_dual_sub_f32 v49, v180, v221 :: v_dual_sub_f32 v50, v202, v222
	v_dual_sub_f32 v51, v203, v223 :: v_dual_sub_f32 v52, v204, v224
	;; [unrolled: 1-line block ×4, first 2 shown]
	s_and_saveexec_b32 s7, s2
	s_cbranch_execnz .LBB12_112
; %bb.95:
	s_or_b32 exec_lo, exec_lo, s7
	s_and_saveexec_b32 s2, s3
	s_cbranch_execnz .LBB12_113
.LBB12_96:
	s_or_b32 exec_lo, exec_lo, s2
	s_and_saveexec_b32 s2, s4
	s_cbranch_execnz .LBB12_114
.LBB12_97:
	s_or_b32 exec_lo, exec_lo, s2
	s_and_saveexec_b32 s2, s5
	s_cbranch_execnz .LBB12_115
.LBB12_98:
	s_or_b32 exec_lo, exec_lo, s2
	s_and_saveexec_b32 s2, s6
	s_cbranch_execnz .LBB12_116
.LBB12_99:
	s_or_b32 exec_lo, exec_lo, s2
	s_and_saveexec_b32 s2, s8
	s_cbranch_execnz .LBB12_117
.LBB12_100:
	s_or_b32 exec_lo, exec_lo, s2
	s_and_saveexec_b32 s2, s9
	s_cbranch_execnz .LBB12_118
.LBB12_101:
	s_or_b32 exec_lo, exec_lo, s2
	s_and_saveexec_b32 s2, s10
	s_cbranch_execnz .LBB12_119
.LBB12_102:
	s_or_b32 exec_lo, exec_lo, s2
	s_and_saveexec_b32 s2, s11
	s_cbranch_execnz .LBB12_120
.LBB12_103:
	s_or_b32 exec_lo, exec_lo, s2
	s_and_saveexec_b32 s2, s13
	s_cbranch_execnz .LBB12_121
.LBB12_104:
	s_or_b32 exec_lo, exec_lo, s2
	s_and_saveexec_b32 s2, s14
	s_cbranch_execnz .LBB12_122
.LBB12_105:
	s_or_b32 exec_lo, exec_lo, s2
	s_and_saveexec_b32 s2, s34
	s_cbranch_execnz .LBB12_123
.LBB12_106:
	s_or_b32 exec_lo, exec_lo, s2
	s_and_saveexec_b32 s2, s16
	s_cbranch_execnz .LBB12_124
.LBB12_107:
	s_or_b32 exec_lo, exec_lo, s2
	s_and_saveexec_b32 s2, s17
	s_cbranch_execnz .LBB12_125
.LBB12_108:
	s_or_b32 exec_lo, exec_lo, s2
	s_and_saveexec_b32 s2, s18
	s_cbranch_execnz .LBB12_126
.LBB12_109:
	s_or_b32 exec_lo, exec_lo, s2
	s_and_saveexec_b32 s2, s20
	s_cbranch_execnz .LBB12_127
.LBB12_110:
	s_or_b32 exec_lo, exec_lo, s2
	s_and_saveexec_b32 s2, s21
	s_cbranch_execnz .LBB12_128
.LBB12_111:
	s_endpgm
.LBB12_112:
	scratch_load_b64 v[0:1], off, off offset:32 ; 8-byte Folded Reload
	v_dual_add_f32 v2, v51, v63 :: v_dual_add_f32 v3, v52, v64
	v_mov_b32_e32 v5, 0
	s_waitcnt vmcnt(0)
	v_add_f32_e32 v1, v50, v62
	s_delay_alu instid0(VALU_DEP_3) | instskip(NEXT) | instid1(VALU_DEP_2)
	v_dual_mul_f32 v2, s35, v2 :: v_dual_mul_f32 v3, s35, v3
	v_dual_mul_f32 v1, s35, v1 :: v_dual_mov_b32 v4, v0
	v_add_f32_e32 v0, v49, v61
	s_delay_alu instid0(VALU_DEP_2) | instskip(NEXT) | instid1(VALU_DEP_2)
	v_lshlrev_b64 v[4:5], 4, v[4:5]
	v_mul_f32_e32 v0, s35, v0
	s_delay_alu instid0(VALU_DEP_2) | instskip(NEXT) | instid1(VALU_DEP_3)
	v_add_co_u32 v4, vcc_lo, s0, v4
	v_add_co_ci_u32_e32 v5, vcc_lo, s1, v5, vcc_lo
	global_store_b128 v[4:5], v[0:3], off
	s_or_b32 exec_lo, exec_lo, s7
	s_and_saveexec_b32 s2, s3
	s_cbranch_execz .LBB12_96
.LBB12_113:
	scratch_load_b64 v[0:1], off, off offset:24 ; 8-byte Folded Reload
	s_waitcnt vmcnt(0)
	v_dual_mov_b32 v5, 0 :: v_dual_mov_b32 v4, v0
	s_clause 0x1
	scratch_load_b32 v0, off, off offset:216
	scratch_load_b32 v1, off, off offset:232
	v_lshlrev_b64 v[4:5], 4, v[4:5]
	s_delay_alu instid0(VALU_DEP_1) | instskip(NEXT) | instid1(VALU_DEP_2)
	v_add_co_u32 v4, vcc_lo, s0, v4
	v_add_co_ci_u32_e32 v5, vcc_lo, s1, v5, vcc_lo
	s_waitcnt vmcnt(0)
	v_sub_f32_e32 v0, v0, v1
	s_clause 0x1
	scratch_load_b32 v1, off, off offset:220
	scratch_load_b32 v2, off, off offset:236
	s_waitcnt vmcnt(0)
	v_sub_f32_e32 v1, v1, v2
	s_clause 0x1
	scratch_load_b32 v2, off, off offset:224
	scratch_load_b32 v3, off, off offset:240
	v_dual_mul_f32 v0, s35, v0 :: v_dual_mul_f32 v1, s35, v1
	s_waitcnt vmcnt(0)
	v_sub_f32_e32 v2, v2, v3
	s_clause 0x1
	scratch_load_b32 v3, off, off offset:228
	scratch_load_b32 v6, off, off offset:244
	s_waitcnt vmcnt(0)
	v_sub_f32_e32 v3, v3, v6
	s_delay_alu instid0(VALU_DEP_1)
	v_dual_mul_f32 v2, s35, v2 :: v_dual_mul_f32 v3, s35, v3
	global_store_b128 v[4:5], v[0:3], off
	s_or_b32 exec_lo, exec_lo, s2
	s_and_saveexec_b32 s2, s4
	s_cbranch_execz .LBB12_97
.LBB12_114:
	scratch_load_b64 v[0:1], off, off offset:48 ; 8-byte Folded Reload
	s_waitcnt vmcnt(0)
	v_dual_mov_b32 v5, 0 :: v_dual_mov_b32 v4, v0
	s_clause 0x1
	scratch_load_b32 v0, off, off offset:248
	scratch_load_b32 v1, off, off offset:264
	v_lshlrev_b64 v[4:5], 4, v[4:5]
	s_delay_alu instid0(VALU_DEP_1) | instskip(NEXT) | instid1(VALU_DEP_2)
	v_add_co_u32 v4, vcc_lo, s0, v4
	v_add_co_ci_u32_e32 v5, vcc_lo, s1, v5, vcc_lo
	s_waitcnt vmcnt(0)
	v_sub_f32_e32 v0, v0, v1
	s_clause 0x1
	scratch_load_b32 v1, off, off offset:252
	scratch_load_b32 v2, off, off offset:268
	s_waitcnt vmcnt(0)
	v_sub_f32_e32 v1, v1, v2
	s_clause 0x1
	scratch_load_b32 v2, off, off offset:256
	scratch_load_b32 v3, off, off offset:272
	v_dual_mul_f32 v0, s35, v0 :: v_dual_mul_f32 v1, s35, v1
	s_waitcnt vmcnt(0)
	v_sub_f32_e32 v2, v2, v3
	s_clause 0x1
	scratch_load_b32 v3, off, off offset:260
	scratch_load_b32 v6, off, off offset:276
	s_waitcnt vmcnt(0)
	v_sub_f32_e32 v3, v3, v6
	s_delay_alu instid0(VALU_DEP_1)
	v_dual_mul_f32 v2, s35, v2 :: v_dual_mul_f32 v3, s35, v3
	global_store_b128 v[4:5], v[0:3], off
	s_or_b32 exec_lo, exec_lo, s2
	s_and_saveexec_b32 s2, s5
	s_cbranch_execz .LBB12_98
.LBB12_115:
	scratch_load_b64 v[0:1], off, off offset:40 ; 8-byte Folded Reload
	v_dual_sub_f32 v2, v239, v243 :: v_dual_sub_f32 v3, v240, v244
	v_mov_b32_e32 v5, 0
	s_waitcnt vmcnt(0)
	v_sub_f32_e32 v1, v238, v242
	s_delay_alu instid0(VALU_DEP_3) | instskip(NEXT) | instid1(VALU_DEP_2)
	v_dual_mul_f32 v2, s35, v2 :: v_dual_mul_f32 v3, s35, v3
	v_dual_mul_f32 v1, s35, v1 :: v_dual_mov_b32 v4, v0
	v_sub_f32_e32 v0, v237, v241
	s_delay_alu instid0(VALU_DEP_2) | instskip(NEXT) | instid1(VALU_DEP_2)
	v_lshlrev_b64 v[4:5], 4, v[4:5]
	v_mul_f32_e32 v0, s35, v0
	s_delay_alu instid0(VALU_DEP_2) | instskip(NEXT) | instid1(VALU_DEP_3)
	v_add_co_u32 v4, vcc_lo, s0, v4
	v_add_co_ci_u32_e32 v5, vcc_lo, s1, v5, vcc_lo
	global_store_b128 v[4:5], v[0:3], off
	s_or_b32 exec_lo, exec_lo, s2
	s_and_saveexec_b32 s2, s6
	s_cbranch_execz .LBB12_99
.LBB12_116:
	scratch_load_b64 v[0:1], off, off offset:64 ; 8-byte Folded Reload
	v_dual_sub_f32 v2, v42, v55 :: v_dual_sub_f32 v3, v43, v56
	v_mov_b32_e32 v5, 0
	s_waitcnt vmcnt(0)
	v_sub_f32_e32 v1, v41, v54
	s_delay_alu instid0(VALU_DEP_3) | instskip(NEXT) | instid1(VALU_DEP_2)
	v_dual_mul_f32 v2, s35, v2 :: v_dual_mul_f32 v3, s35, v3
	v_dual_mul_f32 v1, s35, v1 :: v_dual_mov_b32 v4, v0
	v_sub_f32_e32 v0, v40, v53
	s_delay_alu instid0(VALU_DEP_2) | instskip(NEXT) | instid1(VALU_DEP_2)
	v_lshlrev_b64 v[4:5], 4, v[4:5]
	v_mul_f32_e32 v0, s35, v0
	s_delay_alu instid0(VALU_DEP_2) | instskip(NEXT) | instid1(VALU_DEP_3)
	v_add_co_u32 v4, vcc_lo, s0, v4
	v_add_co_ci_u32_e32 v5, vcc_lo, s1, v5, vcc_lo
	global_store_b128 v[4:5], v[0:3], off
	s_or_b32 exec_lo, exec_lo, s2
	s_and_saveexec_b32 s2, s8
	s_cbranch_execz .LBB12_100
.LBB12_117:
	scratch_load_b64 v[0:1], off, off offset:56 ; 8-byte Folded Reload
	v_dual_sub_f32 v2, v67, v75 :: v_dual_sub_f32 v3, v68, v76
	v_mov_b32_e32 v5, 0
	s_waitcnt vmcnt(0)
	v_sub_f32_e32 v1, v66, v74
	s_delay_alu instid0(VALU_DEP_3) | instskip(NEXT) | instid1(VALU_DEP_2)
	v_dual_mul_f32 v2, s35, v2 :: v_dual_mul_f32 v3, s35, v3
	v_dual_mul_f32 v1, s35, v1 :: v_dual_mov_b32 v4, v0
	v_sub_f32_e32 v0, v65, v73
	s_delay_alu instid0(VALU_DEP_2) | instskip(NEXT) | instid1(VALU_DEP_2)
	v_lshlrev_b64 v[4:5], 4, v[4:5]
	v_mul_f32_e32 v0, s35, v0
	s_delay_alu instid0(VALU_DEP_2) | instskip(NEXT) | instid1(VALU_DEP_3)
	v_add_co_u32 v4, vcc_lo, s0, v4
	v_add_co_ci_u32_e32 v5, vcc_lo, s1, v5, vcc_lo
	global_store_b128 v[4:5], v[0:3], off
	s_or_b32 exec_lo, exec_lo, s2
	s_and_saveexec_b32 s2, s9
	s_cbranch_execz .LBB12_101
.LBB12_118:
	scratch_load_b64 v[0:1], off, off offset:80 ; 8-byte Folded Reload
	v_dual_sub_f32 v2, v83, v91 :: v_dual_sub_f32 v3, v84, v92
	v_mov_b32_e32 v5, 0
	s_waitcnt vmcnt(0)
	v_sub_f32_e32 v1, v82, v90
	s_delay_alu instid0(VALU_DEP_3) | instskip(NEXT) | instid1(VALU_DEP_2)
	v_dual_mul_f32 v2, s35, v2 :: v_dual_mul_f32 v3, s35, v3
	v_dual_mul_f32 v1, s35, v1 :: v_dual_mov_b32 v4, v0
	v_sub_f32_e32 v0, v81, v89
	s_delay_alu instid0(VALU_DEP_2) | instskip(NEXT) | instid1(VALU_DEP_2)
	v_lshlrev_b64 v[4:5], 4, v[4:5]
	v_mul_f32_e32 v0, s35, v0
	s_delay_alu instid0(VALU_DEP_2) | instskip(NEXT) | instid1(VALU_DEP_3)
	v_add_co_u32 v4, vcc_lo, s0, v4
	v_add_co_ci_u32_e32 v5, vcc_lo, s1, v5, vcc_lo
	global_store_b128 v[4:5], v[0:3], off
	s_or_b32 exec_lo, exec_lo, s2
	s_and_saveexec_b32 s2, s10
	s_cbranch_execz .LBB12_102
.LBB12_119:
	scratch_load_b64 v[0:1], off, off offset:72 ; 8-byte Folded Reload
	v_dual_sub_f32 v2, v99, v107 :: v_dual_sub_f32 v3, v100, v108
	v_mov_b32_e32 v5, 0
	s_waitcnt vmcnt(0)
	v_sub_f32_e32 v1, v98, v106
	s_delay_alu instid0(VALU_DEP_3) | instskip(NEXT) | instid1(VALU_DEP_2)
	v_dual_mul_f32 v2, s35, v2 :: v_dual_mul_f32 v3, s35, v3
	v_dual_mul_f32 v1, s35, v1 :: v_dual_mov_b32 v4, v0
	v_sub_f32_e32 v0, v97, v105
	s_delay_alu instid0(VALU_DEP_2) | instskip(NEXT) | instid1(VALU_DEP_2)
	v_lshlrev_b64 v[4:5], 4, v[4:5]
	v_mul_f32_e32 v0, s35, v0
	s_delay_alu instid0(VALU_DEP_2) | instskip(NEXT) | instid1(VALU_DEP_3)
	v_add_co_u32 v4, vcc_lo, s0, v4
	v_add_co_ci_u32_e32 v5, vcc_lo, s1, v5, vcc_lo
	global_store_b128 v[4:5], v[0:3], off
	s_or_b32 exec_lo, exec_lo, s2
	s_and_saveexec_b32 s2, s11
	s_cbranch_execz .LBB12_103
.LBB12_120:
	scratch_load_b64 v[0:1], off, off offset:96 ; 8-byte Folded Reload
	v_dual_sub_f32 v2, v115, v119 :: v_dual_sub_f32 v3, v116, v120
	v_mov_b32_e32 v5, 0
	s_waitcnt vmcnt(0)
	v_sub_f32_e32 v1, v114, v118
	s_delay_alu instid0(VALU_DEP_3) | instskip(NEXT) | instid1(VALU_DEP_2)
	v_dual_mul_f32 v2, s35, v2 :: v_dual_mul_f32 v3, s35, v3
	v_dual_mul_f32 v1, s35, v1 :: v_dual_mov_b32 v4, v0
	v_sub_f32_e32 v0, v113, v117
	s_delay_alu instid0(VALU_DEP_2) | instskip(NEXT) | instid1(VALU_DEP_2)
	v_lshlrev_b64 v[4:5], 4, v[4:5]
	v_mul_f32_e32 v0, s35, v0
	s_delay_alu instid0(VALU_DEP_2) | instskip(NEXT) | instid1(VALU_DEP_3)
	v_add_co_u32 v4, vcc_lo, s0, v4
	v_add_co_ci_u32_e32 v5, vcc_lo, s1, v5, vcc_lo
	global_store_b128 v[4:5], v[0:3], off
	s_or_b32 exec_lo, exec_lo, s2
	s_and_saveexec_b32 s2, s13
	s_cbranch_execz .LBB12_104
.LBB12_121:
	scratch_load_b64 v[0:1], off, off offset:88 ; 8-byte Folded Reload
	v_dual_sub_f32 v2, v103, v111 :: v_dual_sub_f32 v3, v104, v112
	v_mov_b32_e32 v5, 0
	s_waitcnt vmcnt(0)
	v_sub_f32_e32 v1, v102, v110
	s_delay_alu instid0(VALU_DEP_3) | instskip(NEXT) | instid1(VALU_DEP_2)
	v_dual_mul_f32 v2, s35, v2 :: v_dual_mul_f32 v3, s35, v3
	v_dual_mul_f32 v1, s35, v1 :: v_dual_mov_b32 v4, v0
	v_sub_f32_e32 v0, v101, v109
	s_delay_alu instid0(VALU_DEP_2) | instskip(NEXT) | instid1(VALU_DEP_2)
	v_lshlrev_b64 v[4:5], 4, v[4:5]
	v_mul_f32_e32 v0, s35, v0
	s_delay_alu instid0(VALU_DEP_2) | instskip(NEXT) | instid1(VALU_DEP_3)
	v_add_co_u32 v4, vcc_lo, s0, v4
	v_add_co_ci_u32_e32 v5, vcc_lo, s1, v5, vcc_lo
	global_store_b128 v[4:5], v[0:3], off
	s_or_b32 exec_lo, exec_lo, s2
	s_and_saveexec_b32 s2, s14
	s_cbranch_execz .LBB12_105
.LBB12_122:
	scratch_load_b64 v[0:1], off, off offset:112 ; 8-byte Folded Reload
	v_dual_sub_f32 v2, v87, v95 :: v_dual_sub_f32 v3, v88, v96
	v_mov_b32_e32 v5, 0
	s_waitcnt vmcnt(0)
	v_sub_f32_e32 v1, v86, v94
	s_delay_alu instid0(VALU_DEP_3) | instskip(NEXT) | instid1(VALU_DEP_2)
	v_dual_mul_f32 v2, s35, v2 :: v_dual_mul_f32 v3, s35, v3
	v_dual_mul_f32 v1, s35, v1 :: v_dual_mov_b32 v4, v0
	v_sub_f32_e32 v0, v85, v93
	s_delay_alu instid0(VALU_DEP_2) | instskip(NEXT) | instid1(VALU_DEP_2)
	v_lshlrev_b64 v[4:5], 4, v[4:5]
	v_mul_f32_e32 v0, s35, v0
	s_delay_alu instid0(VALU_DEP_2) | instskip(NEXT) | instid1(VALU_DEP_3)
	v_add_co_u32 v4, vcc_lo, s0, v4
	v_add_co_ci_u32_e32 v5, vcc_lo, s1, v5, vcc_lo
	global_store_b128 v[4:5], v[0:3], off
	s_or_b32 exec_lo, exec_lo, s2
	s_and_saveexec_b32 s2, s34
	s_cbranch_execz .LBB12_106
.LBB12_123:
	scratch_load_b64 v[0:1], off, off offset:104 ; 8-byte Folded Reload
	v_dual_sub_f32 v2, v71, v79 :: v_dual_sub_f32 v3, v72, v80
	v_mov_b32_e32 v5, 0
	s_waitcnt vmcnt(0)
	v_sub_f32_e32 v1, v70, v78
	s_delay_alu instid0(VALU_DEP_3) | instskip(NEXT) | instid1(VALU_DEP_2)
	v_dual_mul_f32 v2, s35, v2 :: v_dual_mul_f32 v3, s35, v3
	v_dual_mul_f32 v1, s35, v1 :: v_dual_mov_b32 v4, v0
	v_sub_f32_e32 v0, v69, v77
	s_delay_alu instid0(VALU_DEP_2) | instskip(NEXT) | instid1(VALU_DEP_2)
	v_lshlrev_b64 v[4:5], 4, v[4:5]
	v_mul_f32_e32 v0, s35, v0
	s_delay_alu instid0(VALU_DEP_2) | instskip(NEXT) | instid1(VALU_DEP_3)
	v_add_co_u32 v4, vcc_lo, s0, v4
	v_add_co_ci_u32_e32 v5, vcc_lo, s1, v5, vcc_lo
	global_store_b128 v[4:5], v[0:3], off
	s_or_b32 exec_lo, exec_lo, s2
	s_and_saveexec_b32 s2, s16
	s_cbranch_execz .LBB12_107
.LBB12_124:
	scratch_load_b64 v[0:1], off, off offset:128 ; 8-byte Folded Reload
	v_dual_sub_f32 v2, v46, v59 :: v_dual_sub_f32 v3, v47, v60
	v_mov_b32_e32 v5, 0
	s_waitcnt vmcnt(0)
	v_sub_f32_e32 v1, v45, v58
	s_delay_alu instid0(VALU_DEP_3) | instskip(NEXT) | instid1(VALU_DEP_2)
	v_dual_mul_f32 v2, s35, v2 :: v_dual_mul_f32 v3, s35, v3
	v_dual_mul_f32 v1, s35, v1 :: v_dual_mov_b32 v4, v0
	v_sub_f32_e32 v0, v44, v57
	s_delay_alu instid0(VALU_DEP_2) | instskip(NEXT) | instid1(VALU_DEP_2)
	v_lshlrev_b64 v[4:5], 4, v[4:5]
	v_mul_f32_e32 v0, s35, v0
	s_delay_alu instid0(VALU_DEP_2) | instskip(NEXT) | instid1(VALU_DEP_3)
	v_add_co_u32 v4, vcc_lo, s0, v4
	v_add_co_ci_u32_e32 v5, vcc_lo, s1, v5, vcc_lo
	global_store_b128 v[4:5], v[0:3], off
	s_or_b32 exec_lo, exec_lo, s2
	s_and_saveexec_b32 s2, s17
	s_cbranch_execz .LBB12_108
.LBB12_125:
	scratch_load_b64 v[0:1], off, off offset:120 ; 8-byte Folded Reload
	v_dual_sub_f32 v2, v26, v34 :: v_dual_sub_f32 v3, v27, v35
	v_mov_b32_e32 v5, 0
	s_waitcnt vmcnt(0)
	s_delay_alu instid0(VALU_DEP_2) | instskip(NEXT) | instid1(VALU_DEP_3)
	v_dual_sub_f32 v1, v25, v33 :: v_dual_mul_f32 v2, s35, v2
	v_mul_f32_e32 v3, s35, v3
	s_delay_alu instid0(VALU_DEP_2) | instskip(SKIP_1) | instid1(VALU_DEP_2)
	v_dual_mul_f32 v1, s35, v1 :: v_dual_mov_b32 v4, v0
	v_sub_f32_e32 v0, v24, v32
	v_lshlrev_b64 v[4:5], 4, v[4:5]
	s_delay_alu instid0(VALU_DEP_2) | instskip(NEXT) | instid1(VALU_DEP_2)
	v_mul_f32_e32 v0, s35, v0
	v_add_co_u32 v4, vcc_lo, s0, v4
	s_delay_alu instid0(VALU_DEP_3)
	v_add_co_ci_u32_e32 v5, vcc_lo, s1, v5, vcc_lo
	global_store_b128 v[4:5], v[0:3], off
	s_or_b32 exec_lo, exec_lo, s2
	s_and_saveexec_b32 s2, s18
	s_cbranch_execz .LBB12_109
.LBB12_126:
	scratch_load_b64 v[0:1], off, off offset:144 ; 8-byte Folded Reload
	v_dual_sub_f32 v2, v18, v22 :: v_dual_sub_f32 v3, v19, v23
	v_mov_b32_e32 v5, 0
	s_waitcnt vmcnt(0)
	s_delay_alu instid0(VALU_DEP_2) | instskip(NEXT) | instid1(VALU_DEP_3)
	v_dual_sub_f32 v1, v17, v21 :: v_dual_mul_f32 v2, s35, v2
	v_mul_f32_e32 v3, s35, v3
	s_delay_alu instid0(VALU_DEP_2) | instskip(SKIP_1) | instid1(VALU_DEP_2)
	v_dual_mul_f32 v1, s35, v1 :: v_dual_mov_b32 v4, v0
	v_sub_f32_e32 v0, v16, v20
	v_lshlrev_b64 v[4:5], 4, v[4:5]
	s_delay_alu instid0(VALU_DEP_2) | instskip(NEXT) | instid1(VALU_DEP_2)
	v_mul_f32_e32 v0, s35, v0
	v_add_co_u32 v4, vcc_lo, s0, v4
	s_delay_alu instid0(VALU_DEP_3)
	v_add_co_ci_u32_e32 v5, vcc_lo, s1, v5, vcc_lo
	global_store_b128 v[4:5], v[0:3], off
	s_or_b32 exec_lo, exec_lo, s2
	s_and_saveexec_b32 s2, s20
	s_cbranch_execz .LBB12_110
.LBB12_127:
	scratch_load_b64 v[0:1], off, off offset:136 ; 8-byte Folded Reload
	v_dual_sub_f32 v2, v30, v38 :: v_dual_sub_f32 v3, v31, v39
	v_mov_b32_e32 v5, 0
	s_waitcnt vmcnt(0)
	s_delay_alu instid0(VALU_DEP_2) | instskip(NEXT) | instid1(VALU_DEP_3)
	v_dual_sub_f32 v1, v29, v37 :: v_dual_mul_f32 v2, s35, v2
	v_mul_f32_e32 v3, s35, v3
	s_delay_alu instid0(VALU_DEP_2) | instskip(SKIP_1) | instid1(VALU_DEP_2)
	v_dual_mul_f32 v1, s35, v1 :: v_dual_mov_b32 v4, v0
	v_sub_f32_e32 v0, v28, v36
	v_lshlrev_b64 v[4:5], 4, v[4:5]
	s_delay_alu instid0(VALU_DEP_2) | instskip(NEXT) | instid1(VALU_DEP_2)
	v_mul_f32_e32 v0, s35, v0
	v_add_co_u32 v4, vcc_lo, s0, v4
	s_delay_alu instid0(VALU_DEP_3)
	v_add_co_ci_u32_e32 v5, vcc_lo, s1, v5, vcc_lo
	global_store_b128 v[4:5], v[0:3], off
	s_or_b32 exec_lo, exec_lo, s2
	s_and_saveexec_b32 s2, s21
	s_cbranch_execz .LBB12_111
.LBB12_128:
	scratch_load_b64 v[0:1], off, off       ; 8-byte Folded Reload
	v_dual_sub_f32 v2, v51, v63 :: v_dual_sub_f32 v3, v52, v64
	v_mov_b32_e32 v5, 0
	s_waitcnt vmcnt(0)
	v_sub_f32_e32 v1, v50, v62
	s_delay_alu instid0(VALU_DEP_3) | instskip(NEXT) | instid1(VALU_DEP_2)
	v_dual_mul_f32 v2, s35, v2 :: v_dual_mul_f32 v3, s35, v3
	v_dual_mul_f32 v1, s35, v1 :: v_dual_mov_b32 v4, v0
	v_sub_f32_e32 v0, v49, v61
	s_delay_alu instid0(VALU_DEP_2) | instskip(NEXT) | instid1(VALU_DEP_2)
	v_lshlrev_b64 v[4:5], 4, v[4:5]
	v_mul_f32_e32 v0, s35, v0
	s_delay_alu instid0(VALU_DEP_2) | instskip(NEXT) | instid1(VALU_DEP_3)
	v_add_co_u32 v4, vcc_lo, s0, v4
	v_add_co_ci_u32_e32 v5, vcc_lo, s1, v5, vcc_lo
	global_store_b128 v[4:5], v[0:3], off
	s_endpgm
	.section	.rodata,"a",@progbits
	.p2align	6, 0x0
	.amdhsa_kernel _Z30fast_hadamard_transform_kernelI37fast_hadamard_transform_kernel_traitsILi256ELi15EfEEv18HadamardParamsBase
		.amdhsa_group_segment_fixed_size 0
		.amdhsa_private_segment_fixed_size 284
		.amdhsa_kernarg_size 312
		.amdhsa_user_sgpr_count 15
		.amdhsa_user_sgpr_dispatch_ptr 0
		.amdhsa_user_sgpr_queue_ptr 0
		.amdhsa_user_sgpr_kernarg_segment_ptr 1
		.amdhsa_user_sgpr_dispatch_id 0
		.amdhsa_user_sgpr_private_segment_size 0
		.amdhsa_wavefront_size32 1
		.amdhsa_uses_dynamic_stack 0
		.amdhsa_enable_private_segment 1
		.amdhsa_system_sgpr_workgroup_id_x 1
		.amdhsa_system_sgpr_workgroup_id_y 0
		.amdhsa_system_sgpr_workgroup_id_z 0
		.amdhsa_system_sgpr_workgroup_info 0
		.amdhsa_system_vgpr_workitem_id 0
		.amdhsa_next_free_vgpr 256
		.amdhsa_next_free_sgpr 49
		.amdhsa_reserve_vcc 1
		.amdhsa_float_round_mode_32 0
		.amdhsa_float_round_mode_16_64 0
		.amdhsa_float_denorm_mode_32 3
		.amdhsa_float_denorm_mode_16_64 3
		.amdhsa_dx10_clamp 1
		.amdhsa_ieee_mode 1
		.amdhsa_fp16_overflow 0
		.amdhsa_workgroup_processor_mode 1
		.amdhsa_memory_ordered 1
		.amdhsa_forward_progress 0
		.amdhsa_shared_vgpr_count 0
		.amdhsa_exception_fp_ieee_invalid_op 0
		.amdhsa_exception_fp_denorm_src 0
		.amdhsa_exception_fp_ieee_div_zero 0
		.amdhsa_exception_fp_ieee_overflow 0
		.amdhsa_exception_fp_ieee_underflow 0
		.amdhsa_exception_fp_ieee_inexact 0
		.amdhsa_exception_int_div_zero 0
	.end_amdhsa_kernel
	.section	.text._Z30fast_hadamard_transform_kernelI37fast_hadamard_transform_kernel_traitsILi256ELi15EfEEv18HadamardParamsBase,"axG",@progbits,_Z30fast_hadamard_transform_kernelI37fast_hadamard_transform_kernel_traitsILi256ELi15EfEEv18HadamardParamsBase,comdat
.Lfunc_end12:
	.size	_Z30fast_hadamard_transform_kernelI37fast_hadamard_transform_kernel_traitsILi256ELi15EfEEv18HadamardParamsBase, .Lfunc_end12-_Z30fast_hadamard_transform_kernelI37fast_hadamard_transform_kernel_traitsILi256ELi15EfEEv18HadamardParamsBase
                                        ; -- End function
	.section	.AMDGPU.csdata,"",@progbits
; Kernel info:
; codeLenInByte = 37108
; NumSgprs: 51
; NumVgprs: 256
; ScratchSize: 284
; MemoryBound: 0
; FloatMode: 240
; IeeeMode: 1
; LDSByteSize: 0 bytes/workgroup (compile time only)
; SGPRBlocks: 6
; VGPRBlocks: 31
; NumSGPRsForWavesPerEU: 51
; NumVGPRsForWavesPerEU: 256
; Occupancy: 5
; WaveLimiterHint : 0
; COMPUTE_PGM_RSRC2:SCRATCH_EN: 1
; COMPUTE_PGM_RSRC2:USER_SGPR: 15
; COMPUTE_PGM_RSRC2:TRAP_HANDLER: 0
; COMPUTE_PGM_RSRC2:TGID_X_EN: 1
; COMPUTE_PGM_RSRC2:TGID_Y_EN: 0
; COMPUTE_PGM_RSRC2:TGID_Z_EN: 0
; COMPUTE_PGM_RSRC2:TIDIG_COMP_CNT: 0
	.section	.text._Z30fast_hadamard_transform_kernelI37fast_hadamard_transform_kernel_traitsILi1ELi3E6__halfEEv18HadamardParamsBase,"axG",@progbits,_Z30fast_hadamard_transform_kernelI37fast_hadamard_transform_kernel_traitsILi1ELi3E6__halfEEv18HadamardParamsBase,comdat
	.protected	_Z30fast_hadamard_transform_kernelI37fast_hadamard_transform_kernel_traitsILi1ELi3E6__halfEEv18HadamardParamsBase ; -- Begin function _Z30fast_hadamard_transform_kernelI37fast_hadamard_transform_kernel_traitsILi1ELi3E6__halfEEv18HadamardParamsBase
	.globl	_Z30fast_hadamard_transform_kernelI37fast_hadamard_transform_kernel_traitsILi1ELi3E6__halfEEv18HadamardParamsBase
	.p2align	8
	.type	_Z30fast_hadamard_transform_kernelI37fast_hadamard_transform_kernel_traitsILi1ELi3E6__halfEEv18HadamardParamsBase,@function
_Z30fast_hadamard_transform_kernelI37fast_hadamard_transform_kernel_traitsILi1ELi3E6__halfEEv18HadamardParamsBase: ; @_Z30fast_hadamard_transform_kernelI37fast_hadamard_transform_kernel_traitsILi1ELi3E6__halfEEv18HadamardParamsBase
; %bb.0:
	s_load_b32 s2, s[0:1], 0x4
	s_waitcnt lgkmcnt(0)
	s_cmp_eq_u32 s2, 0
	s_cbranch_scc1 .LBB13_2
; %bb.1:
	s_clause 0x2
	s_load_b128 s[4:7], s[0:1], 0x10
	s_load_b128 s[8:11], s[0:1], 0x28
	s_load_b32 s12, s[0:1], 0x20
	s_ashr_i32 s2, s15, 31
	s_waitcnt lgkmcnt(0)
	s_mul_hi_u32 s1, s6, s15
	s_mul_i32 s3, s6, s2
	s_mul_i32 s7, s7, s15
	s_add_i32 s1, s1, s3
	s_mul_i32 s0, s6, s15
	s_add_i32 s1, s1, s7
	s_mul_hi_u32 s3, s4, s15
	s_lshl_b64 s[0:1], s[0:1], 1
	s_mul_i32 s2, s4, s2
	s_add_u32 s6, s10, s0
	s_mul_i32 s5, s5, s15
	s_addc_u32 s7, s11, s1
	s_add_i32 s1, s3, s2
	s_mul_i32 s0, s4, s15
	s_add_i32 s1, s1, s5
	s_delay_alu instid0(SALU_CYCLE_1) | instskip(NEXT) | instid1(SALU_CYCLE_1)
	s_lshl_b64 s[0:1], s[0:1], 1
	s_add_u32 s0, s8, s0
	s_addc_u32 s1, s9, s1
	s_load_b128 s[0:3], s[0:1], 0x0
	s_waitcnt lgkmcnt(0)
	s_lshr_b32 s4, s0, 16
	s_lshr_b32 s5, s1, 16
	;; [unrolled: 1-line block ×4, first 2 shown]
	v_cvt_f32_f16_e32 v0, s0
	v_cvt_f32_f16_e32 v1, s1
	;; [unrolled: 1-line block ×8, first 2 shown]
	s_delay_alu instid0(VALU_DEP_3) | instskip(NEXT) | instid1(VALU_DEP_2)
	v_dual_sub_f32 v8, v0, v4 :: v_dual_sub_f32 v9, v1, v5
	v_dual_sub_f32 v10, v2, v6 :: v_dual_sub_f32 v11, v3, v7
	v_dual_add_f32 v0, v4, v0 :: v_dual_add_f32 v1, v5, v1
	v_dual_add_f32 v2, v6, v2 :: v_dual_add_f32 v3, v7, v3
	s_delay_alu instid0(VALU_DEP_3) | instskip(NEXT) | instid1(VALU_DEP_3)
	v_dual_sub_f32 v4, v8, v9 :: v_dual_sub_f32 v5, v10, v11
	v_sub_f32_e32 v6, v0, v1
	s_delay_alu instid0(VALU_DEP_3) | instskip(SKIP_1) | instid1(VALU_DEP_4)
	v_dual_add_f32 v0, v1, v0 :: v_dual_add_f32 v1, v3, v2
	v_dual_sub_f32 v7, v2, v3 :: v_dual_add_f32 v8, v9, v8
	v_dual_add_f32 v9, v11, v10 :: v_dual_sub_f32 v10, v4, v5
	v_add_f32_e32 v4, v5, v4
	s_delay_alu instid0(VALU_DEP_3) | instskip(SKIP_1) | instid1(VALU_DEP_4)
	v_dual_sub_f32 v2, v6, v7 :: v_dual_add_f32 v5, v7, v6
	v_sub_f32_e32 v6, v0, v1
	v_dual_add_f32 v0, v1, v0 :: v_dual_sub_f32 v7, v8, v9
	v_add_f32_e32 v8, v9, v8
	s_delay_alu instid0(VALU_DEP_4)
	v_fma_mixlo_f16 v1, s12, v5, 0
	v_mov_b32_e32 v5, 0
	v_fma_mixlo_f16 v3, s12, v2, 0
	v_fma_mixlo_f16 v2, s12, v6, 0
	;; [unrolled: 1-line block ×3, first 2 shown]
	v_fma_mixhi_f16 v1, s12, v4, 0
	s_delay_alu instid0(VALU_DEP_4) | instskip(NEXT) | instid1(VALU_DEP_4)
	v_fma_mixhi_f16 v3, s12, v10, 0
	v_fma_mixhi_f16 v2, s12, v7, 0
	s_delay_alu instid0(VALU_DEP_4)
	v_fma_mixhi_f16 v0, s12, v8, 0
	global_store_b128 v5, v[0:3], s[6:7]
.LBB13_2:
	s_nop 0
	s_sendmsg sendmsg(MSG_DEALLOC_VGPRS)
	s_endpgm
	.section	.rodata,"a",@progbits
	.p2align	6, 0x0
	.amdhsa_kernel _Z30fast_hadamard_transform_kernelI37fast_hadamard_transform_kernel_traitsILi1ELi3E6__halfEEv18HadamardParamsBase
		.amdhsa_group_segment_fixed_size 0
		.amdhsa_private_segment_fixed_size 0
		.amdhsa_kernarg_size 56
		.amdhsa_user_sgpr_count 15
		.amdhsa_user_sgpr_dispatch_ptr 0
		.amdhsa_user_sgpr_queue_ptr 0
		.amdhsa_user_sgpr_kernarg_segment_ptr 1
		.amdhsa_user_sgpr_dispatch_id 0
		.amdhsa_user_sgpr_private_segment_size 0
		.amdhsa_wavefront_size32 1
		.amdhsa_uses_dynamic_stack 0
		.amdhsa_enable_private_segment 0
		.amdhsa_system_sgpr_workgroup_id_x 1
		.amdhsa_system_sgpr_workgroup_id_y 0
		.amdhsa_system_sgpr_workgroup_id_z 0
		.amdhsa_system_sgpr_workgroup_info 0
		.amdhsa_system_vgpr_workitem_id 0
		.amdhsa_next_free_vgpr 12
		.amdhsa_next_free_sgpr 16
		.amdhsa_reserve_vcc 0
		.amdhsa_float_round_mode_32 0
		.amdhsa_float_round_mode_16_64 0
		.amdhsa_float_denorm_mode_32 3
		.amdhsa_float_denorm_mode_16_64 3
		.amdhsa_dx10_clamp 1
		.amdhsa_ieee_mode 1
		.amdhsa_fp16_overflow 0
		.amdhsa_workgroup_processor_mode 1
		.amdhsa_memory_ordered 1
		.amdhsa_forward_progress 0
		.amdhsa_shared_vgpr_count 0
		.amdhsa_exception_fp_ieee_invalid_op 0
		.amdhsa_exception_fp_denorm_src 0
		.amdhsa_exception_fp_ieee_div_zero 0
		.amdhsa_exception_fp_ieee_overflow 0
		.amdhsa_exception_fp_ieee_underflow 0
		.amdhsa_exception_fp_ieee_inexact 0
		.amdhsa_exception_int_div_zero 0
	.end_amdhsa_kernel
	.section	.text._Z30fast_hadamard_transform_kernelI37fast_hadamard_transform_kernel_traitsILi1ELi3E6__halfEEv18HadamardParamsBase,"axG",@progbits,_Z30fast_hadamard_transform_kernelI37fast_hadamard_transform_kernel_traitsILi1ELi3E6__halfEEv18HadamardParamsBase,comdat
.Lfunc_end13:
	.size	_Z30fast_hadamard_transform_kernelI37fast_hadamard_transform_kernel_traitsILi1ELi3E6__halfEEv18HadamardParamsBase, .Lfunc_end13-_Z30fast_hadamard_transform_kernelI37fast_hadamard_transform_kernel_traitsILi1ELi3E6__halfEEv18HadamardParamsBase
                                        ; -- End function
	.section	.AMDGPU.csdata,"",@progbits
; Kernel info:
; codeLenInByte = 404
; NumSgprs: 16
; NumVgprs: 12
; ScratchSize: 0
; MemoryBound: 0
; FloatMode: 240
; IeeeMode: 1
; LDSByteSize: 0 bytes/workgroup (compile time only)
; SGPRBlocks: 1
; VGPRBlocks: 1
; NumSGPRsForWavesPerEU: 16
; NumVGPRsForWavesPerEU: 12
; Occupancy: 16
; WaveLimiterHint : 0
; COMPUTE_PGM_RSRC2:SCRATCH_EN: 0
; COMPUTE_PGM_RSRC2:USER_SGPR: 15
; COMPUTE_PGM_RSRC2:TRAP_HANDLER: 0
; COMPUTE_PGM_RSRC2:TGID_X_EN: 1
; COMPUTE_PGM_RSRC2:TGID_Y_EN: 0
; COMPUTE_PGM_RSRC2:TGID_Z_EN: 0
; COMPUTE_PGM_RSRC2:TIDIG_COMP_CNT: 0
	.section	.text._Z30fast_hadamard_transform_kernelI37fast_hadamard_transform_kernel_traitsILi2ELi4E6__halfEEv18HadamardParamsBase,"axG",@progbits,_Z30fast_hadamard_transform_kernelI37fast_hadamard_transform_kernel_traitsILi2ELi4E6__halfEEv18HadamardParamsBase,comdat
	.protected	_Z30fast_hadamard_transform_kernelI37fast_hadamard_transform_kernel_traitsILi2ELi4E6__halfEEv18HadamardParamsBase ; -- Begin function _Z30fast_hadamard_transform_kernelI37fast_hadamard_transform_kernel_traitsILi2ELi4E6__halfEEv18HadamardParamsBase
	.globl	_Z30fast_hadamard_transform_kernelI37fast_hadamard_transform_kernel_traitsILi2ELi4E6__halfEEv18HadamardParamsBase
	.p2align	8
	.type	_Z30fast_hadamard_transform_kernelI37fast_hadamard_transform_kernel_traitsILi2ELi4E6__halfEEv18HadamardParamsBase,@function
_Z30fast_hadamard_transform_kernelI37fast_hadamard_transform_kernel_traitsILi2ELi4E6__halfEEv18HadamardParamsBase: ; @_Z30fast_hadamard_transform_kernelI37fast_hadamard_transform_kernel_traitsILi2ELi4E6__halfEEv18HadamardParamsBase
; %bb.0:
	s_load_b32 s2, s[0:1], 0x4
	v_dual_mov_b32 v4, 0 :: v_dual_lshlrev_b32 v9, 3, v0
	v_dual_mov_b32 v2, 0 :: v_dual_mov_b32 v3, 0
	v_dual_mov_b32 v6, 0 :: v_dual_mov_b32 v7, 0
	;; [unrolled: 1-line block ×3, first 2 shown]
	v_lshlrev_b32_e32 v1, 4, v0
	s_ashr_i32 s3, s15, 31
	s_waitcnt lgkmcnt(0)
	v_cmp_gt_u32_e32 vcc_lo, s2, v9
	v_mov_b32_e32 v9, 0
	s_and_saveexec_b32 s2, vcc_lo
	s_cbranch_execz .LBB14_2
; %bb.1:
	s_clause 0x1
	s_load_b64 s[4:5], s[0:1], 0x10
	s_load_b64 s[6:7], s[0:1], 0x28
	s_waitcnt lgkmcnt(0)
	s_mul_i32 s8, s4, s3
	s_mul_hi_u32 s9, s4, s15
	s_mul_i32 s5, s5, s15
	s_add_i32 s8, s9, s8
	s_mul_i32 s4, s4, s15
	s_add_i32 s5, s8, s5
	s_delay_alu instid0(SALU_CYCLE_1) | instskip(NEXT) | instid1(SALU_CYCLE_1)
	s_lshl_b64 s[4:5], s[4:5], 1
	s_add_u32 s4, s6, s4
	s_addc_u32 s5, s7, s5
	global_load_b128 v[6:9], v1, s[4:5]
	s_waitcnt vmcnt(0)
	v_cvt_f32_f16_e32 v5, v6
	v_lshrrev_b32_e32 v6, 16, v6
	v_cvt_f32_f16_e32 v4, v7
	v_lshrrev_b32_e32 v7, 16, v7
	v_lshrrev_b32_e32 v10, 16, v8
	;; [unrolled: 1-line block ×3, first 2 shown]
	v_cvt_f32_f16_e32 v3, v8
	v_cvt_f32_f16_e32 v2, v9
	;; [unrolled: 1-line block ×6, first 2 shown]
.LBB14_2:
	s_or_b32 exec_lo, exec_lo, s2
	s_delay_alu instid0(VALU_DEP_1)
	v_add_f32_e32 v10, v9, v5
	v_sub_f32_e32 v5, v5, v9
	v_add_f32_e32 v9, v8, v4
	v_sub_f32_e32 v4, v4, v8
	v_add_f32_e32 v8, v7, v3
	v_sub_f32_e32 v3, v3, v7
	v_add_f32_e32 v7, v6, v2
	v_sub_f32_e32 v2, v2, v6
	v_mbcnt_lo_u32_b32 v6, -1, 0
	v_dual_add_f32 v11, v9, v10 :: v_dual_sub_f32 v10, v10, v9
	v_dual_add_f32 v9, v4, v5 :: v_dual_sub_f32 v4, v5, v4
	s_delay_alu instid0(VALU_DEP_3) | instskip(SKIP_2) | instid1(VALU_DEP_3)
	v_xor_b32_e32 v5, 1, v6
	v_dual_add_f32 v12, v7, v8 :: v_dual_sub_f32 v7, v8, v7
	v_dual_add_f32 v13, v2, v3 :: v_dual_sub_f32 v2, v3, v2
	v_cmp_gt_i32_e64 s2, 32, v5
	s_delay_alu instid0(VALU_DEP_3) | instskip(NEXT) | instid1(VALU_DEP_3)
	v_dual_add_f32 v3, v12, v11 :: v_dual_sub_f32 v8, v11, v12
	v_dual_sub_f32 v15, v10, v7 :: v_dual_sub_f32 v16, v4, v2
	s_delay_alu instid0(VALU_DEP_3) | instskip(SKIP_3) | instid1(VALU_DEP_4)
	v_cndmask_b32_e64 v6, v6, v5, s2
	v_add_f32_e32 v5, v13, v9
	v_dual_sub_f32 v12, v9, v13 :: v_dual_add_f32 v9, v7, v10
	v_add_f32_e32 v13, v2, v4
	v_lshlrev_b32_e32 v17, 2, v6
	ds_bpermute_b32 v4, v17, v3
	ds_bpermute_b32 v2, v17, v5
	;; [unrolled: 1-line block ×8, first 2 shown]
	s_and_saveexec_b32 s2, vcc_lo
	s_cbranch_execz .LBB14_4
; %bb.3:
	s_clause 0x2
	s_load_b64 s[4:5], s[0:1], 0x18
	s_load_b64 s[6:7], s[0:1], 0x30
	s_load_b32 s2, s[0:1], 0x20
	v_cmp_eq_u32_e32 vcc_lo, 0, v0
	v_cndmask_b32_e64 v15, -v15, v15, vcc_lo
	v_cndmask_b32_e64 v8, -v8, v8, vcc_lo
	;; [unrolled: 1-line block ×8, first 2 shown]
	s_waitcnt lgkmcnt(0)
	v_add_f32_e32 v14, v15, v14
	v_add_f32_e32 v8, v8, v10
	v_dual_add_f32 v6, v9, v6 :: v_dual_add_f32 v9, v3, v4
	v_dual_add_f32 v0, v0, v17 :: v_dual_add_f32 v7, v13, v7
	s_mul_i32 s0, s4, s3
	s_mul_hi_u32 s1, s4, s15
	v_dual_add_f32 v11, v12, v11 :: v_dual_add_f32 v10, v5, v2
	v_fma_mixlo_f16 v5, s2, v14, 0
	v_fma_mixlo_f16 v4, s2, v8, 0
	;; [unrolled: 1-line block ×4, first 2 shown]
	s_mul_i32 s3, s5, s15
	s_add_i32 s1, s1, s0
	s_mul_i32 s0, s4, s15
	s_add_i32 s1, s1, s3
	v_fma_mixhi_f16 v5, s2, v0, 0
	s_lshl_b64 s[0:1], s[0:1], 1
	v_fma_mixhi_f16 v4, s2, v11, 0
	v_fma_mixhi_f16 v3, s2, v7, 0
	;; [unrolled: 1-line block ×3, first 2 shown]
	s_add_u32 s0, s6, s0
	s_addc_u32 s1, s7, s1
	global_store_b128 v1, v[2:5], s[0:1]
.LBB14_4:
	s_nop 0
	s_sendmsg sendmsg(MSG_DEALLOC_VGPRS)
	s_endpgm
	.section	.rodata,"a",@progbits
	.p2align	6, 0x0
	.amdhsa_kernel _Z30fast_hadamard_transform_kernelI37fast_hadamard_transform_kernel_traitsILi2ELi4E6__halfEEv18HadamardParamsBase
		.amdhsa_group_segment_fixed_size 0
		.amdhsa_private_segment_fixed_size 0
		.amdhsa_kernarg_size 56
		.amdhsa_user_sgpr_count 15
		.amdhsa_user_sgpr_dispatch_ptr 0
		.amdhsa_user_sgpr_queue_ptr 0
		.amdhsa_user_sgpr_kernarg_segment_ptr 1
		.amdhsa_user_sgpr_dispatch_id 0
		.amdhsa_user_sgpr_private_segment_size 0
		.amdhsa_wavefront_size32 1
		.amdhsa_uses_dynamic_stack 0
		.amdhsa_enable_private_segment 0
		.amdhsa_system_sgpr_workgroup_id_x 1
		.amdhsa_system_sgpr_workgroup_id_y 0
		.amdhsa_system_sgpr_workgroup_id_z 0
		.amdhsa_system_sgpr_workgroup_info 0
		.amdhsa_system_vgpr_workitem_id 0
		.amdhsa_next_free_vgpr 18
		.amdhsa_next_free_sgpr 16
		.amdhsa_reserve_vcc 1
		.amdhsa_float_round_mode_32 0
		.amdhsa_float_round_mode_16_64 0
		.amdhsa_float_denorm_mode_32 3
		.amdhsa_float_denorm_mode_16_64 3
		.amdhsa_dx10_clamp 1
		.amdhsa_ieee_mode 1
		.amdhsa_fp16_overflow 0
		.amdhsa_workgroup_processor_mode 1
		.amdhsa_memory_ordered 1
		.amdhsa_forward_progress 0
		.amdhsa_shared_vgpr_count 0
		.amdhsa_exception_fp_ieee_invalid_op 0
		.amdhsa_exception_fp_denorm_src 0
		.amdhsa_exception_fp_ieee_div_zero 0
		.amdhsa_exception_fp_ieee_overflow 0
		.amdhsa_exception_fp_ieee_underflow 0
		.amdhsa_exception_fp_ieee_inexact 0
		.amdhsa_exception_int_div_zero 0
	.end_amdhsa_kernel
	.section	.text._Z30fast_hadamard_transform_kernelI37fast_hadamard_transform_kernel_traitsILi2ELi4E6__halfEEv18HadamardParamsBase,"axG",@progbits,_Z30fast_hadamard_transform_kernelI37fast_hadamard_transform_kernel_traitsILi2ELi4E6__halfEEv18HadamardParamsBase,comdat
.Lfunc_end14:
	.size	_Z30fast_hadamard_transform_kernelI37fast_hadamard_transform_kernel_traitsILi2ELi4E6__halfEEv18HadamardParamsBase, .Lfunc_end14-_Z30fast_hadamard_transform_kernelI37fast_hadamard_transform_kernel_traitsILi2ELi4E6__halfEEv18HadamardParamsBase
                                        ; -- End function
	.section	.AMDGPU.csdata,"",@progbits
; Kernel info:
; codeLenInByte = 664
; NumSgprs: 18
; NumVgprs: 18
; ScratchSize: 0
; MemoryBound: 0
; FloatMode: 240
; IeeeMode: 1
; LDSByteSize: 0 bytes/workgroup (compile time only)
; SGPRBlocks: 2
; VGPRBlocks: 2
; NumSGPRsForWavesPerEU: 18
; NumVGPRsForWavesPerEU: 18
; Occupancy: 16
; WaveLimiterHint : 0
; COMPUTE_PGM_RSRC2:SCRATCH_EN: 0
; COMPUTE_PGM_RSRC2:USER_SGPR: 15
; COMPUTE_PGM_RSRC2:TRAP_HANDLER: 0
; COMPUTE_PGM_RSRC2:TGID_X_EN: 1
; COMPUTE_PGM_RSRC2:TGID_Y_EN: 0
; COMPUTE_PGM_RSRC2:TGID_Z_EN: 0
; COMPUTE_PGM_RSRC2:TIDIG_COMP_CNT: 0
	.section	.text._Z30fast_hadamard_transform_kernelI37fast_hadamard_transform_kernel_traitsILi4ELi5E6__halfEEv18HadamardParamsBase,"axG",@progbits,_Z30fast_hadamard_transform_kernelI37fast_hadamard_transform_kernel_traitsILi4ELi5E6__halfEEv18HadamardParamsBase,comdat
	.protected	_Z30fast_hadamard_transform_kernelI37fast_hadamard_transform_kernel_traitsILi4ELi5E6__halfEEv18HadamardParamsBase ; -- Begin function _Z30fast_hadamard_transform_kernelI37fast_hadamard_transform_kernel_traitsILi4ELi5E6__halfEEv18HadamardParamsBase
	.globl	_Z30fast_hadamard_transform_kernelI37fast_hadamard_transform_kernel_traitsILi4ELi5E6__halfEEv18HadamardParamsBase
	.p2align	8
	.type	_Z30fast_hadamard_transform_kernelI37fast_hadamard_transform_kernel_traitsILi4ELi5E6__halfEEv18HadamardParamsBase,@function
_Z30fast_hadamard_transform_kernelI37fast_hadamard_transform_kernel_traitsILi4ELi5E6__halfEEv18HadamardParamsBase: ; @_Z30fast_hadamard_transform_kernelI37fast_hadamard_transform_kernel_traitsILi4ELi5E6__halfEEv18HadamardParamsBase
; %bb.0:
	s_load_b32 s2, s[0:1], 0x4
	v_dual_mov_b32 v6, 0 :: v_dual_lshlrev_b32 v9, 3, v0
	v_dual_mov_b32 v2, 0 :: v_dual_mov_b32 v3, 0
	v_dual_mov_b32 v4, 0 :: v_dual_mov_b32 v5, 0
	;; [unrolled: 1-line block ×3, first 2 shown]
	v_lshlrev_b32_e32 v1, 4, v0
	s_ashr_i32 s4, s15, 31
	s_waitcnt lgkmcnt(0)
	v_cmp_gt_u32_e32 vcc_lo, s2, v9
	v_mov_b32_e32 v9, 0
	s_and_saveexec_b32 s2, vcc_lo
	s_cbranch_execz .LBB15_2
; %bb.1:
	s_clause 0x1
	s_load_b64 s[6:7], s[0:1], 0x10
	s_load_b64 s[8:9], s[0:1], 0x28
	s_waitcnt lgkmcnt(0)
	s_mul_i32 s3, s6, s4
	s_mul_hi_u32 s5, s6, s15
	s_mul_i32 s7, s7, s15
	s_add_i32 s3, s5, s3
	s_mul_i32 s6, s6, s15
	s_add_i32 s7, s3, s7
	s_delay_alu instid0(SALU_CYCLE_1) | instskip(NEXT) | instid1(SALU_CYCLE_1)
	s_lshl_b64 s[6:7], s[6:7], 1
	s_add_u32 s6, s8, s6
	s_addc_u32 s7, s9, s7
	global_load_b128 v[2:5], v1, s[6:7]
	s_waitcnt vmcnt(0)
	v_lshrrev_b32_e32 v8, 16, v2
	v_cvt_f32_f16_e32 v6, v3
	v_lshrrev_b32_e32 v10, 16, v3
	v_cvt_f32_f16_e32 v3, v4
	v_lshrrev_b32_e32 v4, 16, v4
	v_lshrrev_b32_e32 v11, 16, v5
	v_cvt_f32_f16_e32 v7, v2
	v_cvt_f32_f16_e32 v2, v5
	;; [unrolled: 1-line block ×6, first 2 shown]
.LBB15_2:
	s_or_b32 exec_lo, exec_lo, s2
	v_mbcnt_lo_u32_b32 v11, -1, 0
	v_dual_add_f32 v10, v9, v7 :: v_dual_sub_f32 v7, v7, v9
	v_dual_add_f32 v9, v8, v6 :: v_dual_sub_f32 v6, v6, v8
	;; [unrolled: 1-line block ×4, first 2 shown]
	v_xor_b32_e32 v12, 1, v11
	s_delay_alu instid0(VALU_DEP_4) | instskip(SKIP_1) | instid1(VALU_DEP_4)
	v_dual_add_f32 v4, v9, v10 :: v_dual_sub_f32 v9, v10, v9
	v_add_f32_e32 v10, v6, v7
	v_dual_sub_f32 v6, v7, v6 :: v_dual_add_f32 v13, v2, v3
	v_add_f32_e32 v7, v5, v8
	v_cmp_gt_i32_e64 s2, 32, v12
	v_dual_sub_f32 v5, v8, v5 :: v_dual_sub_f32 v2, v3, v2
	s_delay_alu instid0(VALU_DEP_3) | instskip(NEXT) | instid1(VALU_DEP_3)
	v_add_f32_e32 v3, v7, v4
	v_cndmask_b32_e64 v12, v11, v12, s2
	s_delay_alu instid0(VALU_DEP_3) | instskip(SKIP_2) | instid1(VALU_DEP_4)
	v_add_f32_e32 v14, v5, v9
	v_dual_sub_f32 v4, v4, v7 :: v_dual_sub_f32 v5, v9, v5
	v_and_b32_e32 v7, 1, v0
	v_dual_add_f32 v15, v2, v6 :: v_dual_lshlrev_b32 v8, 2, v12
	v_add_f32_e32 v12, v13, v10
	s_delay_alu instid0(VALU_DEP_3)
	v_cmp_eq_u32_e64 s2, 0, v7
	ds_bpermute_b32 v16, v8, v3
	ds_bpermute_b32 v19, v8, v15
	;; [unrolled: 1-line block ×4, first 2 shown]
	v_cndmask_b32_e64 v7, -v15, v15, s2
	v_sub_f32_e32 v10, v10, v13
	ds_bpermute_b32 v13, v8, v4
	v_cndmask_b32_e64 v4, -v4, v4, s2
	v_sub_f32_e32 v9, v6, v2
	v_cndmask_b32_e64 v2, -v3, v3, s2
	v_cndmask_b32_e64 v3, -v12, v12, s2
	v_xor_b32_e32 v12, 2, v11
	ds_bpermute_b32 v21, v8, v5
	v_cndmask_b32_e64 v6, -v14, v14, s2
	v_cndmask_b32_e64 v5, -v5, v5, s2
	v_cmp_gt_i32_e64 s3, 32, v12
	s_waitcnt lgkmcnt(4)
	v_dual_add_f32 v2, v2, v16 :: v_dual_add_f32 v7, v7, v19
	s_waitcnt lgkmcnt(3)
	v_add_f32_e32 v3, v3, v17
	ds_bpermute_b32 v20, v8, v10
	v_cndmask_b32_e64 v11, v11, v12, s3
	v_cndmask_b32_e64 v10, -v10, v10, s2
	s_waitcnt lgkmcnt(2)
	v_add_f32_e32 v12, v4, v13
	ds_bpermute_b32 v8, v8, v9
	v_cndmask_b32_e64 v9, -v9, v9, s2
	v_dual_add_f32 v6, v6, v18 :: v_dual_lshlrev_b32 v17, 2, v11
	s_waitcnt lgkmcnt(2)
	v_add_f32_e32 v15, v5, v21
	ds_bpermute_b32 v4, v17, v2
	ds_bpermute_b32 v5, v17, v3
	;; [unrolled: 1-line block ×3, first 2 shown]
	s_waitcnt lgkmcnt(4)
	v_add_f32_e32 v14, v10, v20
	ds_bpermute_b32 v10, v17, v12
	s_waitcnt lgkmcnt(4)
	v_add_f32_e32 v16, v9, v8
	ds_bpermute_b32 v8, v17, v6
	ds_bpermute_b32 v9, v17, v7
	;; [unrolled: 1-line block ×4, first 2 shown]
	s_and_saveexec_b32 s2, vcc_lo
	s_cbranch_execz .LBB15_4
; %bb.3:
	s_load_b64 s[2:3], s[0:1], 0x18
	v_and_b32_e32 v0, 2, v0
	s_clause 0x1
	s_load_b64 s[6:7], s[0:1], 0x30
	s_load_b32 s5, s[0:1], 0x20
	s_delay_alu instid0(VALU_DEP_1)
	v_cmp_eq_u32_e32 vcc_lo, 0, v0
	v_cndmask_b32_e64 v15, -v15, v15, vcc_lo
	v_cndmask_b32_e64 v12, -v12, v12, vcc_lo
	;; [unrolled: 1-line block ×5, first 2 shown]
	s_waitcnt lgkmcnt(0)
	v_add_f32_e32 v13, v15, v13
	v_cndmask_b32_e64 v14, -v14, v14, vcc_lo
	v_cndmask_b32_e64 v7, -v7, v7, vcc_lo
	;; [unrolled: 1-line block ×3, first 2 shown]
	v_add_f32_e32 v10, v12, v10
	v_add_f32_e32 v6, v6, v8
	s_delay_alu instid0(VALU_DEP_4)
	v_dual_add_f32 v2, v2, v4 :: v_dual_add_f32 v7, v7, v9
	s_mul_i32 s0, s2, s4
	s_mul_hi_u32 s1, s2, s15
	v_dual_add_f32 v0, v0, v17 :: v_dual_add_f32 v11, v14, v11
	v_add_f32_e32 v8, v3, v5
	v_fma_mixlo_f16 v5, s5, v13, 0
	v_fma_mixlo_f16 v4, s5, v10, 0
	;; [unrolled: 1-line block ×4, first 2 shown]
	s_mul_i32 s3, s3, s15
	s_add_i32 s1, s1, s0
	s_mul_i32 s0, s2, s15
	s_add_i32 s1, s1, s3
	v_fma_mixhi_f16 v5, s5, v0, 0
	s_lshl_b64 s[0:1], s[0:1], 1
	v_fma_mixhi_f16 v4, s5, v11, 0
	v_fma_mixhi_f16 v3, s5, v7, 0
	v_fma_mixhi_f16 v2, s5, v8, 0
	s_add_u32 s0, s6, s0
	s_addc_u32 s1, s7, s1
	global_store_b128 v1, v[2:5], s[0:1]
.LBB15_4:
	s_nop 0
	s_sendmsg sendmsg(MSG_DEALLOC_VGPRS)
	s_endpgm
	.section	.rodata,"a",@progbits
	.p2align	6, 0x0
	.amdhsa_kernel _Z30fast_hadamard_transform_kernelI37fast_hadamard_transform_kernel_traitsILi4ELi5E6__halfEEv18HadamardParamsBase
		.amdhsa_group_segment_fixed_size 0
		.amdhsa_private_segment_fixed_size 0
		.amdhsa_kernarg_size 56
		.amdhsa_user_sgpr_count 15
		.amdhsa_user_sgpr_dispatch_ptr 0
		.amdhsa_user_sgpr_queue_ptr 0
		.amdhsa_user_sgpr_kernarg_segment_ptr 1
		.amdhsa_user_sgpr_dispatch_id 0
		.amdhsa_user_sgpr_private_segment_size 0
		.amdhsa_wavefront_size32 1
		.amdhsa_uses_dynamic_stack 0
		.amdhsa_enable_private_segment 0
		.amdhsa_system_sgpr_workgroup_id_x 1
		.amdhsa_system_sgpr_workgroup_id_y 0
		.amdhsa_system_sgpr_workgroup_id_z 0
		.amdhsa_system_sgpr_workgroup_info 0
		.amdhsa_system_vgpr_workitem_id 0
		.amdhsa_next_free_vgpr 22
		.amdhsa_next_free_sgpr 16
		.amdhsa_reserve_vcc 1
		.amdhsa_float_round_mode_32 0
		.amdhsa_float_round_mode_16_64 0
		.amdhsa_float_denorm_mode_32 3
		.amdhsa_float_denorm_mode_16_64 3
		.amdhsa_dx10_clamp 1
		.amdhsa_ieee_mode 1
		.amdhsa_fp16_overflow 0
		.amdhsa_workgroup_processor_mode 1
		.amdhsa_memory_ordered 1
		.amdhsa_forward_progress 0
		.amdhsa_shared_vgpr_count 0
		.amdhsa_exception_fp_ieee_invalid_op 0
		.amdhsa_exception_fp_denorm_src 0
		.amdhsa_exception_fp_ieee_div_zero 0
		.amdhsa_exception_fp_ieee_overflow 0
		.amdhsa_exception_fp_ieee_underflow 0
		.amdhsa_exception_fp_ieee_inexact 0
		.amdhsa_exception_int_div_zero 0
	.end_amdhsa_kernel
	.section	.text._Z30fast_hadamard_transform_kernelI37fast_hadamard_transform_kernel_traitsILi4ELi5E6__halfEEv18HadamardParamsBase,"axG",@progbits,_Z30fast_hadamard_transform_kernelI37fast_hadamard_transform_kernel_traitsILi4ELi5E6__halfEEv18HadamardParamsBase,comdat
.Lfunc_end15:
	.size	_Z30fast_hadamard_transform_kernelI37fast_hadamard_transform_kernel_traitsILi4ELi5E6__halfEEv18HadamardParamsBase, .Lfunc_end15-_Z30fast_hadamard_transform_kernelI37fast_hadamard_transform_kernel_traitsILi4ELi5E6__halfEEv18HadamardParamsBase
                                        ; -- End function
	.section	.AMDGPU.csdata,"",@progbits
; Kernel info:
; codeLenInByte = 896
; NumSgprs: 18
; NumVgprs: 22
; ScratchSize: 0
; MemoryBound: 0
; FloatMode: 240
; IeeeMode: 1
; LDSByteSize: 0 bytes/workgroup (compile time only)
; SGPRBlocks: 2
; VGPRBlocks: 2
; NumSGPRsForWavesPerEU: 18
; NumVGPRsForWavesPerEU: 22
; Occupancy: 16
; WaveLimiterHint : 0
; COMPUTE_PGM_RSRC2:SCRATCH_EN: 0
; COMPUTE_PGM_RSRC2:USER_SGPR: 15
; COMPUTE_PGM_RSRC2:TRAP_HANDLER: 0
; COMPUTE_PGM_RSRC2:TGID_X_EN: 1
; COMPUTE_PGM_RSRC2:TGID_Y_EN: 0
; COMPUTE_PGM_RSRC2:TGID_Z_EN: 0
; COMPUTE_PGM_RSRC2:TIDIG_COMP_CNT: 0
	.section	.text._Z30fast_hadamard_transform_kernelI37fast_hadamard_transform_kernel_traitsILi8ELi6E6__halfEEv18HadamardParamsBase,"axG",@progbits,_Z30fast_hadamard_transform_kernelI37fast_hadamard_transform_kernel_traitsILi8ELi6E6__halfEEv18HadamardParamsBase,comdat
	.protected	_Z30fast_hadamard_transform_kernelI37fast_hadamard_transform_kernel_traitsILi8ELi6E6__halfEEv18HadamardParamsBase ; -- Begin function _Z30fast_hadamard_transform_kernelI37fast_hadamard_transform_kernel_traitsILi8ELi6E6__halfEEv18HadamardParamsBase
	.globl	_Z30fast_hadamard_transform_kernelI37fast_hadamard_transform_kernel_traitsILi8ELi6E6__halfEEv18HadamardParamsBase
	.p2align	8
	.type	_Z30fast_hadamard_transform_kernelI37fast_hadamard_transform_kernel_traitsILi8ELi6E6__halfEEv18HadamardParamsBase,@function
_Z30fast_hadamard_transform_kernelI37fast_hadamard_transform_kernel_traitsILi8ELi6E6__halfEEv18HadamardParamsBase: ; @_Z30fast_hadamard_transform_kernelI37fast_hadamard_transform_kernel_traitsILi8ELi6E6__halfEEv18HadamardParamsBase
; %bb.0:
	s_load_b32 s2, s[0:1], 0x4
	v_dual_mov_b32 v6, 0 :: v_dual_lshlrev_b32 v9, 3, v0
	v_dual_mov_b32 v2, 0 :: v_dual_mov_b32 v3, 0
	v_dual_mov_b32 v4, 0 :: v_dual_mov_b32 v5, 0
	;; [unrolled: 1-line block ×3, first 2 shown]
	v_lshlrev_b32_e32 v1, 4, v0
	s_ashr_i32 s4, s15, 31
	s_waitcnt lgkmcnt(0)
	v_cmp_gt_u32_e32 vcc_lo, s2, v9
	v_mov_b32_e32 v9, 0
	s_and_saveexec_b32 s2, vcc_lo
	s_cbranch_execz .LBB16_2
; %bb.1:
	s_clause 0x1
	s_load_b64 s[6:7], s[0:1], 0x10
	s_load_b64 s[8:9], s[0:1], 0x28
	s_waitcnt lgkmcnt(0)
	s_mul_i32 s3, s6, s4
	s_mul_hi_u32 s5, s6, s15
	s_mul_i32 s7, s7, s15
	s_add_i32 s3, s5, s3
	s_mul_i32 s6, s6, s15
	s_add_i32 s7, s3, s7
	s_delay_alu instid0(SALU_CYCLE_1) | instskip(NEXT) | instid1(SALU_CYCLE_1)
	s_lshl_b64 s[6:7], s[6:7], 1
	s_add_u32 s6, s8, s6
	s_addc_u32 s7, s9, s7
	global_load_b128 v[2:5], v1, s[6:7]
	s_waitcnt vmcnt(0)
	v_lshrrev_b32_e32 v8, 16, v2
	v_cvt_f32_f16_e32 v6, v3
	v_lshrrev_b32_e32 v10, 16, v3
	v_cvt_f32_f16_e32 v3, v4
	v_lshrrev_b32_e32 v4, 16, v4
	v_lshrrev_b32_e32 v11, 16, v5
	v_cvt_f32_f16_e32 v7, v2
	v_cvt_f32_f16_e32 v2, v5
	;; [unrolled: 1-line block ×6, first 2 shown]
.LBB16_2:
	s_or_b32 exec_lo, exec_lo, s2
	v_mbcnt_lo_u32_b32 v11, -1, 0
	v_dual_add_f32 v10, v9, v7 :: v_dual_sub_f32 v7, v7, v9
	v_dual_add_f32 v9, v8, v6 :: v_dual_sub_f32 v6, v6, v8
	s_delay_alu instid0(VALU_DEP_3) | instskip(SKIP_2) | instid1(VALU_DEP_3)
	v_xor_b32_e32 v12, 1, v11
	v_dual_add_f32 v8, v5, v3 :: v_dual_sub_f32 v3, v3, v5
	v_dual_add_f32 v5, v4, v2 :: v_dual_sub_f32 v2, v2, v4
	v_cmp_gt_i32_e64 s2, 32, v12
	v_dual_add_f32 v4, v9, v10 :: v_dual_sub_f32 v9, v10, v9
	v_add_f32_e32 v10, v6, v7
	s_delay_alu instid0(VALU_DEP_4) | instskip(SKIP_4) | instid1(VALU_DEP_4)
	v_dual_sub_f32 v6, v7, v6 :: v_dual_add_f32 v13, v2, v3
	v_add_f32_e32 v7, v5, v8
	v_cndmask_b32_e64 v12, v11, v12, s2
	v_dual_sub_f32 v5, v8, v5 :: v_dual_sub_f32 v2, v3, v2
	v_and_b32_e32 v16, 1, v0
	v_add_f32_e32 v3, v7, v4
	s_delay_alu instid0(VALU_DEP_4)
	v_lshlrev_b32_e32 v8, 2, v12
	v_add_f32_e32 v12, v13, v10
	v_add_f32_e32 v15, v2, v6
	v_cmp_eq_u32_e64 s2, 0, v16
	v_sub_f32_e32 v2, v6, v2
	ds_bpermute_b32 v17, v8, v3
	ds_bpermute_b32 v18, v8, v12
	v_cndmask_b32_e64 v3, -v3, v3, s2
	v_sub_f32_e32 v4, v4, v7
	ds_bpermute_b32 v7, v8, v15
	v_cndmask_b32_e64 v15, -v15, v15, s2
	v_add_f32_e32 v14, v5, v9
	v_sub_f32_e32 v5, v9, v5
	v_cndmask_b32_e64 v6, -v12, v12, s2
	v_xor_b32_e32 v12, 2, v11
	ds_bpermute_b32 v16, v8, v5
	v_cndmask_b32_e64 v5, -v5, v5, s2
	v_cmp_gt_i32_e64 s3, 32, v12
	s_delay_alu instid0(VALU_DEP_1)
	v_cndmask_b32_e64 v12, v11, v12, s3
	s_waitcnt lgkmcnt(2)
	v_dual_add_f32 v3, v3, v17 :: v_dual_add_f32 v6, v6, v18
	s_waitcnt lgkmcnt(1)
	v_add_f32_e32 v7, v15, v7
	ds_bpermute_b32 v19, v8, v14
	v_cndmask_b32_e64 v9, -v14, v14, s2
	v_sub_f32_e32 v10, v10, v13
	ds_bpermute_b32 v13, v8, v4
	v_cndmask_b32_e64 v4, -v4, v4, s2
	v_lshlrev_b32_e32 v12, 2, v12
	s_waitcnt lgkmcnt(2)
	v_add_f32_e32 v5, v5, v16
	ds_bpermute_b32 v17, v12, v6
	ds_bpermute_b32 v15, v12, v3
	s_waitcnt lgkmcnt(3)
	v_add_f32_e32 v9, v9, v19
	ds_bpermute_b32 v14, v8, v10
	v_cndmask_b32_e64 v10, -v10, v10, s2
	s_waitcnt lgkmcnt(3)
	v_dual_add_f32 v4, v4, v13 :: v_dual_and_b32 v13, 2, v0
	ds_bpermute_b32 v8, v8, v2
	v_cndmask_b32_e64 v2, -v2, v2, s2
	v_cmp_eq_u32_e64 s2, 0, v13
	s_waitcnt lgkmcnt(0)
	s_delay_alu instid0(VALU_DEP_2) | instskip(NEXT) | instid1(VALU_DEP_2)
	v_add_f32_e32 v8, v2, v8
	v_cndmask_b32_e64 v2, -v3, v3, s2
	v_cndmask_b32_e64 v3, -v6, v6, s2
	;; [unrolled: 1-line block ×3, first 2 shown]
	s_delay_alu instid0(VALU_DEP_2)
	v_add_f32_e32 v3, v3, v17
	ds_bpermute_b32 v19, v12, v7
	ds_bpermute_b32 v18, v12, v9
	v_xor_b32_e32 v9, 4, v11
	v_cndmask_b32_e64 v7, -v7, v7, s2
	ds_bpermute_b32 v16, v12, v5
	ds_bpermute_b32 v20, v12, v8
	v_cndmask_b32_e64 v5, -v5, v5, s2
	v_cmp_gt_i32_e64 s3, 32, v9
	v_cndmask_b32_e64 v8, -v8, v8, s2
	v_add_f32_e32 v2, v2, v15
	s_delay_alu instid0(VALU_DEP_3) | instskip(NEXT) | instid1(VALU_DEP_1)
	v_cndmask_b32_e64 v9, v11, v9, s3
	v_dual_add_f32 v10, v10, v14 :: v_dual_lshlrev_b32 v17, 2, v9
	ds_bpermute_b32 v13, v12, v10
	v_cndmask_b32_e64 v10, -v10, v10, s2
	s_waitcnt lgkmcnt(4)
	v_add_f32_e32 v7, v7, v19
	ds_bpermute_b32 v14, v12, v4
	v_cndmask_b32_e64 v4, -v4, v4, s2
	s_waitcnt lgkmcnt(3)
	v_dual_add_f32 v6, v6, v18 :: v_dual_add_f32 v15, v5, v16
	s_waitcnt lgkmcnt(2)
	v_add_f32_e32 v16, v8, v20
	ds_bpermute_b32 v5, v17, v3
	ds_bpermute_b32 v9, v17, v7
	;; [unrolled: 1-line block ×3, first 2 shown]
	s_waitcnt lgkmcnt(3)
	v_add_f32_e32 v12, v4, v14
	v_add_f32_e32 v14, v10, v13
	ds_bpermute_b32 v4, v17, v2
	ds_bpermute_b32 v13, v17, v15
	;; [unrolled: 1-line block ×5, first 2 shown]
	s_and_saveexec_b32 s2, vcc_lo
	s_cbranch_execz .LBB16_4
; %bb.3:
	s_load_b64 s[2:3], s[0:1], 0x18
	v_and_b32_e32 v0, 4, v0
	s_clause 0x1
	s_load_b64 s[6:7], s[0:1], 0x30
	s_load_b32 s5, s[0:1], 0x20
	s_delay_alu instid0(VALU_DEP_1)
	v_cmp_eq_u32_e32 vcc_lo, 0, v0
	v_cndmask_b32_e64 v15, -v15, v15, vcc_lo
	v_cndmask_b32_e64 v12, -v12, v12, vcc_lo
	;; [unrolled: 1-line block ×5, first 2 shown]
	s_waitcnt lgkmcnt(0)
	v_add_f32_e32 v13, v15, v13
	v_cndmask_b32_e64 v14, -v14, v14, vcc_lo
	v_cndmask_b32_e64 v7, -v7, v7, vcc_lo
	;; [unrolled: 1-line block ×3, first 2 shown]
	v_add_f32_e32 v10, v12, v10
	v_add_f32_e32 v6, v6, v8
	s_delay_alu instid0(VALU_DEP_4)
	v_dual_add_f32 v2, v2, v4 :: v_dual_add_f32 v7, v7, v9
	s_mul_i32 s0, s2, s4
	s_mul_hi_u32 s1, s2, s15
	v_dual_add_f32 v0, v0, v17 :: v_dual_add_f32 v11, v14, v11
	v_add_f32_e32 v8, v3, v5
	v_fma_mixlo_f16 v5, s5, v13, 0
	v_fma_mixlo_f16 v4, s5, v10, 0
	;; [unrolled: 1-line block ×4, first 2 shown]
	s_mul_i32 s3, s3, s15
	s_add_i32 s1, s1, s0
	s_mul_i32 s0, s2, s15
	s_add_i32 s1, s1, s3
	v_fma_mixhi_f16 v5, s5, v0, 0
	s_lshl_b64 s[0:1], s[0:1], 1
	v_fma_mixhi_f16 v4, s5, v11, 0
	v_fma_mixhi_f16 v3, s5, v7, 0
	;; [unrolled: 1-line block ×3, first 2 shown]
	s_add_u32 s0, s6, s0
	s_addc_u32 s1, s7, s1
	global_store_b128 v1, v[2:5], s[0:1]
.LBB16_4:
	s_nop 0
	s_sendmsg sendmsg(MSG_DEALLOC_VGPRS)
	s_endpgm
	.section	.rodata,"a",@progbits
	.p2align	6, 0x0
	.amdhsa_kernel _Z30fast_hadamard_transform_kernelI37fast_hadamard_transform_kernel_traitsILi8ELi6E6__halfEEv18HadamardParamsBase
		.amdhsa_group_segment_fixed_size 0
		.amdhsa_private_segment_fixed_size 0
		.amdhsa_kernarg_size 56
		.amdhsa_user_sgpr_count 15
		.amdhsa_user_sgpr_dispatch_ptr 0
		.amdhsa_user_sgpr_queue_ptr 0
		.amdhsa_user_sgpr_kernarg_segment_ptr 1
		.amdhsa_user_sgpr_dispatch_id 0
		.amdhsa_user_sgpr_private_segment_size 0
		.amdhsa_wavefront_size32 1
		.amdhsa_uses_dynamic_stack 0
		.amdhsa_enable_private_segment 0
		.amdhsa_system_sgpr_workgroup_id_x 1
		.amdhsa_system_sgpr_workgroup_id_y 0
		.amdhsa_system_sgpr_workgroup_id_z 0
		.amdhsa_system_sgpr_workgroup_info 0
		.amdhsa_system_vgpr_workitem_id 0
		.amdhsa_next_free_vgpr 21
		.amdhsa_next_free_sgpr 16
		.amdhsa_reserve_vcc 1
		.amdhsa_float_round_mode_32 0
		.amdhsa_float_round_mode_16_64 0
		.amdhsa_float_denorm_mode_32 3
		.amdhsa_float_denorm_mode_16_64 3
		.amdhsa_dx10_clamp 1
		.amdhsa_ieee_mode 1
		.amdhsa_fp16_overflow 0
		.amdhsa_workgroup_processor_mode 1
		.amdhsa_memory_ordered 1
		.amdhsa_forward_progress 0
		.amdhsa_shared_vgpr_count 0
		.amdhsa_exception_fp_ieee_invalid_op 0
		.amdhsa_exception_fp_denorm_src 0
		.amdhsa_exception_fp_ieee_div_zero 0
		.amdhsa_exception_fp_ieee_overflow 0
		.amdhsa_exception_fp_ieee_underflow 0
		.amdhsa_exception_fp_ieee_inexact 0
		.amdhsa_exception_int_div_zero 0
	.end_amdhsa_kernel
	.section	.text._Z30fast_hadamard_transform_kernelI37fast_hadamard_transform_kernel_traitsILi8ELi6E6__halfEEv18HadamardParamsBase,"axG",@progbits,_Z30fast_hadamard_transform_kernelI37fast_hadamard_transform_kernel_traitsILi8ELi6E6__halfEEv18HadamardParamsBase,comdat
.Lfunc_end16:
	.size	_Z30fast_hadamard_transform_kernelI37fast_hadamard_transform_kernel_traitsILi8ELi6E6__halfEEv18HadamardParamsBase, .Lfunc_end16-_Z30fast_hadamard_transform_kernelI37fast_hadamard_transform_kernel_traitsILi8ELi6E6__halfEEv18HadamardParamsBase
                                        ; -- End function
	.section	.AMDGPU.csdata,"",@progbits
; Kernel info:
; codeLenInByte = 1120
; NumSgprs: 18
; NumVgprs: 21
; ScratchSize: 0
; MemoryBound: 0
; FloatMode: 240
; IeeeMode: 1
; LDSByteSize: 0 bytes/workgroup (compile time only)
; SGPRBlocks: 2
; VGPRBlocks: 2
; NumSGPRsForWavesPerEU: 18
; NumVGPRsForWavesPerEU: 21
; Occupancy: 16
; WaveLimiterHint : 0
; COMPUTE_PGM_RSRC2:SCRATCH_EN: 0
; COMPUTE_PGM_RSRC2:USER_SGPR: 15
; COMPUTE_PGM_RSRC2:TRAP_HANDLER: 0
; COMPUTE_PGM_RSRC2:TGID_X_EN: 1
; COMPUTE_PGM_RSRC2:TGID_Y_EN: 0
; COMPUTE_PGM_RSRC2:TGID_Z_EN: 0
; COMPUTE_PGM_RSRC2:TIDIG_COMP_CNT: 0
	.section	.text._Z30fast_hadamard_transform_kernelI37fast_hadamard_transform_kernel_traitsILi16ELi7E6__halfEEv18HadamardParamsBase,"axG",@progbits,_Z30fast_hadamard_transform_kernelI37fast_hadamard_transform_kernel_traitsILi16ELi7E6__halfEEv18HadamardParamsBase,comdat
	.protected	_Z30fast_hadamard_transform_kernelI37fast_hadamard_transform_kernel_traitsILi16ELi7E6__halfEEv18HadamardParamsBase ; -- Begin function _Z30fast_hadamard_transform_kernelI37fast_hadamard_transform_kernel_traitsILi16ELi7E6__halfEEv18HadamardParamsBase
	.globl	_Z30fast_hadamard_transform_kernelI37fast_hadamard_transform_kernel_traitsILi16ELi7E6__halfEEv18HadamardParamsBase
	.p2align	8
	.type	_Z30fast_hadamard_transform_kernelI37fast_hadamard_transform_kernel_traitsILi16ELi7E6__halfEEv18HadamardParamsBase,@function
_Z30fast_hadamard_transform_kernelI37fast_hadamard_transform_kernel_traitsILi16ELi7E6__halfEEv18HadamardParamsBase: ; @_Z30fast_hadamard_transform_kernelI37fast_hadamard_transform_kernel_traitsILi16ELi7E6__halfEEv18HadamardParamsBase
; %bb.0:
	s_load_b32 s2, s[0:1], 0x4
	v_dual_mov_b32 v6, 0 :: v_dual_lshlrev_b32 v9, 3, v0
	v_dual_mov_b32 v2, 0 :: v_dual_mov_b32 v5, 0
	v_dual_mov_b32 v3, 0 :: v_dual_mov_b32 v4, 0
	v_dual_mov_b32 v7, 0 :: v_dual_mov_b32 v8, 0
	v_lshlrev_b32_e32 v1, 4, v0
	s_ashr_i32 s4, s15, 31
	s_waitcnt lgkmcnt(0)
	v_cmp_gt_u32_e32 vcc_lo, s2, v9
	v_mov_b32_e32 v9, 0
	s_and_saveexec_b32 s2, vcc_lo
	s_cbranch_execz .LBB17_2
; %bb.1:
	s_clause 0x1
	s_load_b64 s[6:7], s[0:1], 0x10
	s_load_b64 s[8:9], s[0:1], 0x28
	s_waitcnt lgkmcnt(0)
	s_mul_i32 s3, s6, s4
	s_mul_hi_u32 s5, s6, s15
	s_mul_i32 s7, s7, s15
	s_add_i32 s3, s5, s3
	s_mul_i32 s6, s6, s15
	s_add_i32 s7, s3, s7
	s_delay_alu instid0(SALU_CYCLE_1) | instskip(NEXT) | instid1(SALU_CYCLE_1)
	s_lshl_b64 s[6:7], s[6:7], 1
	s_add_u32 s6, s8, s6
	s_addc_u32 s7, s9, s7
	global_load_b128 v[7:10], v1, s[6:7]
	s_waitcnt vmcnt(0)
	v_cvt_f32_f16_e32 v6, v7
	v_lshrrev_b32_e32 v5, 16, v7
	v_lshrrev_b32_e32 v7, 16, v8
	;; [unrolled: 1-line block ×4, first 2 shown]
	v_cvt_f32_f16_e32 v4, v8
	v_cvt_f32_f16_e32 v3, v9
	;; [unrolled: 1-line block ×7, first 2 shown]
.LBB17_2:
	s_or_b32 exec_lo, exec_lo, s2
	v_mbcnt_lo_u32_b32 v11, -1, 0
	v_add_f32_e32 v10, v9, v6
	s_delay_alu instid0(VALU_DEP_3) | instskip(SKIP_1) | instid1(VALU_DEP_4)
	v_dual_sub_f32 v6, v6, v9 :: v_dual_add_f32 v13, v5, v2
	v_add_f32_e32 v9, v8, v4
	v_xor_b32_e32 v14, 1, v11
	v_add_f32_e32 v12, v7, v3
	v_dual_sub_f32 v4, v4, v8 :: v_dual_sub_f32 v3, v3, v7
	s_delay_alu instid0(VALU_DEP_4) | instskip(NEXT) | instid1(VALU_DEP_4)
	v_add_f32_e32 v7, v9, v10
	v_cmp_gt_i32_e64 s2, 32, v14
	s_delay_alu instid0(VALU_DEP_4)
	v_add_f32_e32 v8, v13, v12
	v_sub_f32_e32 v2, v2, v5
	v_sub_f32_e32 v5, v10, v9
	v_add_f32_e32 v9, v4, v6
	v_cndmask_b32_e64 v14, v11, v14, s2
	v_sub_f32_e32 v4, v6, v4
	v_dual_sub_f32 v6, v12, v13 :: v_dual_and_b32 v17, 1, v0
	v_add_f32_e32 v10, v8, v7
	v_dual_add_f32 v12, v2, v3 :: v_dual_sub_f32 v7, v7, v8
	v_lshlrev_b32_e32 v14, 2, v14
	v_sub_f32_e32 v2, v3, v2
	v_cmp_eq_u32_e64 s2, 0, v17
	s_delay_alu instid0(VALU_DEP_4)
	v_add_f32_e32 v13, v12, v9
	v_sub_f32_e32 v9, v9, v12
	ds_bpermute_b32 v21, v14, v7
	v_add_f32_e32 v15, v6, v5
	ds_bpermute_b32 v3, v14, v10
	v_sub_f32_e32 v5, v5, v6
	v_cndmask_b32_e64 v7, -v7, v7, s2
	v_add_f32_e32 v16, v2, v4
	ds_bpermute_b32 v8, v14, v13
	v_xor_b32_e32 v20, 2, v11
	ds_bpermute_b32 v18, v14, v15
	v_cndmask_b32_e64 v10, -v10, v10, s2
	v_sub_f32_e32 v2, v4, v2
	v_cndmask_b32_e64 v4, -v13, v13, s2
	v_cmp_gt_i32_e64 s3, 32, v20
	v_cndmask_b32_e64 v6, -v15, v15, s2
	ds_bpermute_b32 v12, v14, v9
	ds_bpermute_b32 v13, v14, v5
	v_cndmask_b32_e64 v9, -v9, v9, s2
	v_cndmask_b32_e64 v15, v11, v20, s3
	v_cndmask_b32_e64 v5, -v5, v5, s2
	s_waitcnt lgkmcnt(5)
	v_add_f32_e32 v7, v7, v21
	ds_bpermute_b32 v19, v14, v16
	s_waitcnt lgkmcnt(5)
	v_add_f32_e32 v3, v10, v3
	v_cndmask_b32_e64 v10, -v16, v16, s2
	ds_bpermute_b32 v14, v14, v2
	v_cndmask_b32_e64 v2, -v2, v2, s2
	s_waitcnt lgkmcnt(5)
	v_add_f32_e32 v4, v4, v8
	s_waitcnt lgkmcnt(3)
	v_dual_add_f32 v6, v6, v18 :: v_dual_add_f32 v9, v9, v12
	s_waitcnt lgkmcnt(2)
	v_add_f32_e32 v5, v5, v13
	v_xor_b32_e32 v12, 4, v11
	s_waitcnt lgkmcnt(1)
	v_add_f32_e32 v8, v10, v19
	v_lshlrev_b32_e32 v10, 2, v15
	v_and_b32_e32 v15, 2, v0
	v_cmp_gt_i32_e64 s3, 32, v12
	ds_bpermute_b32 v16, v10, v3
	v_cmp_eq_u32_e64 s2, 0, v15
	v_cndmask_b32_e64 v12, v11, v12, s3
	s_delay_alu instid0(VALU_DEP_2) | instskip(SKIP_1) | instid1(VALU_DEP_1)
	v_cndmask_b32_e64 v3, -v3, v3, s2
	s_waitcnt lgkmcnt(0)
	v_add_f32_e32 v3, v3, v16
	ds_bpermute_b32 v17, v10, v4
	ds_bpermute_b32 v13, v10, v7
	v_cndmask_b32_e64 v7, -v7, v7, s2
	v_add_f32_e32 v2, v2, v14
	ds_bpermute_b32 v14, v10, v9
	v_cndmask_b32_e64 v4, -v4, v4, s2
	ds_bpermute_b32 v18, v10, v6
	ds_bpermute_b32 v19, v10, v8
	;; [unrolled: 1-line block ×3, first 2 shown]
	v_cndmask_b32_e64 v9, -v9, v9, s2
	v_lshlrev_b32_e32 v12, 2, v12
	v_cndmask_b32_e64 v6, -v6, v6, s2
	v_cndmask_b32_e64 v8, -v8, v8, s2
	;; [unrolled: 1-line block ×3, first 2 shown]
	s_waitcnt lgkmcnt(5)
	v_add_f32_e32 v4, v4, v17
	s_waitcnt lgkmcnt(4)
	v_add_f32_e32 v13, v7, v13
	v_and_b32_e32 v7, 4, v0
	ds_bpermute_b32 v10, v10, v2
	s_waitcnt lgkmcnt(4)
	v_add_f32_e32 v9, v9, v14
	ds_bpermute_b32 v17, v12, v4
	v_cndmask_b32_e64 v2, -v2, v2, s2
	v_cmp_eq_u32_e64 s2, 0, v7
	ds_bpermute_b32 v16, v12, v3
	s_waitcnt lgkmcnt(3)
	v_dual_add_f32 v6, v6, v18 :: v_dual_add_f32 v5, v5, v15
	ds_bpermute_b32 v14, v12, v13
	ds_bpermute_b32 v15, v12, v9
	v_cndmask_b32_e64 v9, -v9, v9, s2
	ds_bpermute_b32 v18, v12, v6
	ds_bpermute_b32 v20, v12, v5
	v_cndmask_b32_e64 v5, -v5, v5, s2
	s_waitcnt lgkmcnt(6)
	v_add_f32_e32 v10, v2, v10
	v_cndmask_b32_e64 v2, -v3, v3, s2
	v_cndmask_b32_e64 v3, -v4, v4, s2
	v_add_f32_e32 v8, v8, v19
	v_cndmask_b32_e64 v4, -v6, v6, s2
	s_waitcnt lgkmcnt(4)
	s_delay_alu instid0(VALU_DEP_3)
	v_dual_add_f32 v2, v2, v16 :: v_dual_add_f32 v3, v3, v17
	ds_bpermute_b32 v19, v12, v8
	v_cndmask_b32_e64 v7, -v8, v8, s2
	v_xor_b32_e32 v8, 8, v11
	s_waitcnt lgkmcnt(2)
	v_add_f32_e32 v6, v4, v18
	s_delay_alu instid0(VALU_DEP_2) | instskip(NEXT) | instid1(VALU_DEP_1)
	v_cmp_gt_i32_e64 s3, 32, v8
	v_cndmask_b32_e64 v4, v11, v8, s3
	v_cndmask_b32_e64 v8, -v13, v13, s2
	s_delay_alu instid0(VALU_DEP_2)
	v_lshlrev_b32_e32 v17, 2, v4
	s_waitcnt lgkmcnt(0)
	v_add_f32_e32 v7, v7, v19
	ds_bpermute_b32 v21, v12, v10
	v_cndmask_b32_e64 v10, -v10, v10, s2
	v_add_f32_e32 v12, v8, v14
	v_add_f32_e32 v14, v9, v15
	;; [unrolled: 1-line block ×3, first 2 shown]
	ds_bpermute_b32 v4, v17, v2
	ds_bpermute_b32 v5, v17, v3
	;; [unrolled: 1-line block ×6, first 2 shown]
	s_waitcnt lgkmcnt(6)
	v_add_f32_e32 v16, v10, v21
	ds_bpermute_b32 v10, v17, v12
	ds_bpermute_b32 v17, v17, v16
	s_and_saveexec_b32 s2, vcc_lo
	s_cbranch_execz .LBB17_4
; %bb.3:
	s_load_b64 s[2:3], s[0:1], 0x18
	v_and_b32_e32 v0, 8, v0
	s_clause 0x1
	s_load_b64 s[6:7], s[0:1], 0x30
	s_load_b32 s5, s[0:1], 0x20
	s_delay_alu instid0(VALU_DEP_1)
	v_cmp_eq_u32_e32 vcc_lo, 0, v0
	v_cndmask_b32_e64 v15, -v15, v15, vcc_lo
	v_cndmask_b32_e64 v12, -v12, v12, vcc_lo
	;; [unrolled: 1-line block ×5, first 2 shown]
	s_waitcnt lgkmcnt(0)
	v_add_f32_e32 v13, v15, v13
	v_cndmask_b32_e64 v14, -v14, v14, vcc_lo
	v_cndmask_b32_e64 v7, -v7, v7, vcc_lo
	;; [unrolled: 1-line block ×3, first 2 shown]
	v_add_f32_e32 v10, v12, v10
	v_add_f32_e32 v6, v6, v8
	s_delay_alu instid0(VALU_DEP_4)
	v_dual_add_f32 v2, v2, v4 :: v_dual_add_f32 v7, v7, v9
	s_mul_i32 s0, s2, s4
	s_mul_hi_u32 s1, s2, s15
	v_dual_add_f32 v0, v0, v17 :: v_dual_add_f32 v11, v14, v11
	v_add_f32_e32 v8, v3, v5
	v_fma_mixlo_f16 v5, s5, v13, 0
	v_fma_mixlo_f16 v4, s5, v10, 0
	;; [unrolled: 1-line block ×4, first 2 shown]
	s_mul_i32 s3, s3, s15
	s_add_i32 s1, s1, s0
	s_mul_i32 s0, s2, s15
	s_add_i32 s1, s1, s3
	v_fma_mixhi_f16 v5, s5, v0, 0
	s_lshl_b64 s[0:1], s[0:1], 1
	v_fma_mixhi_f16 v4, s5, v11, 0
	v_fma_mixhi_f16 v3, s5, v7, 0
	;; [unrolled: 1-line block ×3, first 2 shown]
	s_add_u32 s0, s6, s0
	s_addc_u32 s1, s7, s1
	global_store_b128 v1, v[2:5], s[0:1]
.LBB17_4:
	s_nop 0
	s_sendmsg sendmsg(MSG_DEALLOC_VGPRS)
	s_endpgm
	.section	.rodata,"a",@progbits
	.p2align	6, 0x0
	.amdhsa_kernel _Z30fast_hadamard_transform_kernelI37fast_hadamard_transform_kernel_traitsILi16ELi7E6__halfEEv18HadamardParamsBase
		.amdhsa_group_segment_fixed_size 0
		.amdhsa_private_segment_fixed_size 0
		.amdhsa_kernarg_size 56
		.amdhsa_user_sgpr_count 15
		.amdhsa_user_sgpr_dispatch_ptr 0
		.amdhsa_user_sgpr_queue_ptr 0
		.amdhsa_user_sgpr_kernarg_segment_ptr 1
		.amdhsa_user_sgpr_dispatch_id 0
		.amdhsa_user_sgpr_private_segment_size 0
		.amdhsa_wavefront_size32 1
		.amdhsa_uses_dynamic_stack 0
		.amdhsa_enable_private_segment 0
		.amdhsa_system_sgpr_workgroup_id_x 1
		.amdhsa_system_sgpr_workgroup_id_y 0
		.amdhsa_system_sgpr_workgroup_id_z 0
		.amdhsa_system_sgpr_workgroup_info 0
		.amdhsa_system_vgpr_workitem_id 0
		.amdhsa_next_free_vgpr 22
		.amdhsa_next_free_sgpr 16
		.amdhsa_reserve_vcc 1
		.amdhsa_float_round_mode_32 0
		.amdhsa_float_round_mode_16_64 0
		.amdhsa_float_denorm_mode_32 3
		.amdhsa_float_denorm_mode_16_64 3
		.amdhsa_dx10_clamp 1
		.amdhsa_ieee_mode 1
		.amdhsa_fp16_overflow 0
		.amdhsa_workgroup_processor_mode 1
		.amdhsa_memory_ordered 1
		.amdhsa_forward_progress 0
		.amdhsa_shared_vgpr_count 0
		.amdhsa_exception_fp_ieee_invalid_op 0
		.amdhsa_exception_fp_denorm_src 0
		.amdhsa_exception_fp_ieee_div_zero 0
		.amdhsa_exception_fp_ieee_overflow 0
		.amdhsa_exception_fp_ieee_underflow 0
		.amdhsa_exception_fp_ieee_inexact 0
		.amdhsa_exception_int_div_zero 0
	.end_amdhsa_kernel
	.section	.text._Z30fast_hadamard_transform_kernelI37fast_hadamard_transform_kernel_traitsILi16ELi7E6__halfEEv18HadamardParamsBase,"axG",@progbits,_Z30fast_hadamard_transform_kernelI37fast_hadamard_transform_kernel_traitsILi16ELi7E6__halfEEv18HadamardParamsBase,comdat
.Lfunc_end17:
	.size	_Z30fast_hadamard_transform_kernelI37fast_hadamard_transform_kernel_traitsILi16ELi7E6__halfEEv18HadamardParamsBase, .Lfunc_end17-_Z30fast_hadamard_transform_kernelI37fast_hadamard_transform_kernel_traitsILi16ELi7E6__halfEEv18HadamardParamsBase
                                        ; -- End function
	.section	.AMDGPU.csdata,"",@progbits
; Kernel info:
; codeLenInByte = 1344
; NumSgprs: 18
; NumVgprs: 22
; ScratchSize: 0
; MemoryBound: 0
; FloatMode: 240
; IeeeMode: 1
; LDSByteSize: 0 bytes/workgroup (compile time only)
; SGPRBlocks: 2
; VGPRBlocks: 2
; NumSGPRsForWavesPerEU: 18
; NumVGPRsForWavesPerEU: 22
; Occupancy: 16
; WaveLimiterHint : 0
; COMPUTE_PGM_RSRC2:SCRATCH_EN: 0
; COMPUTE_PGM_RSRC2:USER_SGPR: 15
; COMPUTE_PGM_RSRC2:TRAP_HANDLER: 0
; COMPUTE_PGM_RSRC2:TGID_X_EN: 1
; COMPUTE_PGM_RSRC2:TGID_Y_EN: 0
; COMPUTE_PGM_RSRC2:TGID_Z_EN: 0
; COMPUTE_PGM_RSRC2:TIDIG_COMP_CNT: 0
	.section	.text._Z30fast_hadamard_transform_kernelI37fast_hadamard_transform_kernel_traitsILi32ELi8E6__halfEEv18HadamardParamsBase,"axG",@progbits,_Z30fast_hadamard_transform_kernelI37fast_hadamard_transform_kernel_traitsILi32ELi8E6__halfEEv18HadamardParamsBase,comdat
	.protected	_Z30fast_hadamard_transform_kernelI37fast_hadamard_transform_kernel_traitsILi32ELi8E6__halfEEv18HadamardParamsBase ; -- Begin function _Z30fast_hadamard_transform_kernelI37fast_hadamard_transform_kernel_traitsILi32ELi8E6__halfEEv18HadamardParamsBase
	.globl	_Z30fast_hadamard_transform_kernelI37fast_hadamard_transform_kernel_traitsILi32ELi8E6__halfEEv18HadamardParamsBase
	.p2align	8
	.type	_Z30fast_hadamard_transform_kernelI37fast_hadamard_transform_kernel_traitsILi32ELi8E6__halfEEv18HadamardParamsBase,@function
_Z30fast_hadamard_transform_kernelI37fast_hadamard_transform_kernel_traitsILi32ELi8E6__halfEEv18HadamardParamsBase: ; @_Z30fast_hadamard_transform_kernelI37fast_hadamard_transform_kernel_traitsILi32ELi8E6__halfEEv18HadamardParamsBase
; %bb.0:
	s_load_b32 s2, s[0:1], 0x4
	v_dual_mov_b32 v4, 0 :: v_dual_lshlrev_b32 v9, 3, v0
	v_dual_mov_b32 v2, 0 :: v_dual_mov_b32 v3, 0
	v_dual_mov_b32 v6, 0 :: v_dual_mov_b32 v7, 0
	;; [unrolled: 1-line block ×3, first 2 shown]
	v_lshlrev_b32_e32 v1, 4, v0
	s_ashr_i32 s4, s15, 31
	s_waitcnt lgkmcnt(0)
	v_cmp_gt_u32_e32 vcc_lo, s2, v9
	v_mov_b32_e32 v9, 0
	s_and_saveexec_b32 s2, vcc_lo
	s_cbranch_execz .LBB18_2
; %bb.1:
	s_clause 0x1
	s_load_b64 s[6:7], s[0:1], 0x10
	s_load_b64 s[8:9], s[0:1], 0x28
	s_waitcnt lgkmcnt(0)
	s_mul_i32 s3, s6, s4
	s_mul_hi_u32 s5, s6, s15
	s_mul_i32 s7, s7, s15
	s_add_i32 s3, s5, s3
	s_mul_i32 s6, s6, s15
	s_add_i32 s7, s3, s7
	s_delay_alu instid0(SALU_CYCLE_1) | instskip(NEXT) | instid1(SALU_CYCLE_1)
	s_lshl_b64 s[6:7], s[6:7], 1
	s_add_u32 s6, s8, s6
	s_addc_u32 s7, s9, s7
	global_load_b128 v[6:9], v1, s[6:7]
	s_waitcnt vmcnt(0)
	v_cvt_f32_f16_e32 v5, v6
	v_lshrrev_b32_e32 v6, 16, v6
	v_cvt_f32_f16_e32 v4, v7
	v_lshrrev_b32_e32 v7, 16, v7
	v_lshrrev_b32_e32 v10, 16, v8
	;; [unrolled: 1-line block ×3, first 2 shown]
	v_cvt_f32_f16_e32 v3, v8
	v_cvt_f32_f16_e32 v2, v9
	;; [unrolled: 1-line block ×6, first 2 shown]
.LBB18_2:
	s_or_b32 exec_lo, exec_lo, s2
	v_mbcnt_lo_u32_b32 v10, -1, 0
	v_dual_add_f32 v11, v9, v5 :: v_dual_add_f32 v12, v8, v4
	s_delay_alu instid0(VALU_DEP_3) | instskip(NEXT) | instid1(VALU_DEP_3)
	v_dual_add_f32 v13, v7, v3 :: v_dual_add_f32 v14, v6, v2
	v_xor_b32_e32 v15, 1, v10
	v_dual_sub_f32 v5, v5, v9 :: v_dual_sub_f32 v4, v4, v8
	s_delay_alu instid0(VALU_DEP_3) | instskip(NEXT) | instid1(VALU_DEP_3)
	v_dual_add_f32 v9, v12, v11 :: v_dual_add_f32 v16, v14, v13
	v_cmp_gt_i32_e64 s2, 32, v15
	v_dual_sub_f32 v3, v3, v7 :: v_dual_sub_f32 v2, v2, v6
	s_delay_alu instid0(VALU_DEP_4) | instskip(NEXT) | instid1(VALU_DEP_3)
	v_dual_sub_f32 v8, v11, v12 :: v_dual_add_f32 v11, v4, v5
	v_cndmask_b32_e64 v15, v10, v15, s2
	v_add_f32_e32 v6, v16, v9
	s_delay_alu instid0(VALU_DEP_4) | instskip(SKIP_1) | instid1(VALU_DEP_4)
	v_dual_sub_f32 v4, v5, v4 :: v_dual_add_f32 v5, v2, v3
	v_dual_sub_f32 v2, v3, v2 :: v_dual_and_b32 v3, 1, v0
	v_lshlrev_b32_e32 v7, 2, v15
	v_sub_f32_e32 v13, v13, v14
	v_xor_b32_e32 v14, 2, v10
	s_delay_alu instid0(VALU_DEP_4)
	v_dual_add_f32 v18, v2, v4 :: v_dual_add_f32 v15, v5, v11
	ds_bpermute_b32 v12, v7, v6
	v_dual_add_f32 v17, v13, v8 :: v_dual_sub_f32 v2, v4, v2
	v_cmp_eq_u32_e64 s2, 0, v3
	v_cmp_gt_i32_e64 s3, 32, v14
	ds_bpermute_b32 v19, v7, v18
	v_cndmask_b32_e64 v3, -v6, v6, s2
	v_sub_f32_e32 v6, v8, v13
	v_cndmask_b32_e64 v4, v10, v14, s3
	v_sub_f32_e32 v5, v11, v5
	ds_bpermute_b32 v11, v7, v15
	v_cndmask_b32_e64 v8, -v15, v15, s2
	v_sub_f32_e32 v9, v9, v16
	ds_bpermute_b32 v16, v7, v17
	ds_bpermute_b32 v15, v7, v6
	v_cndmask_b32_e64 v13, -v18, v18, s2
	v_lshlrev_b32_e32 v4, 2, v4
	ds_bpermute_b32 v14, v7, v5
	s_waitcnt lgkmcnt(5)
	v_add_f32_e32 v3, v3, v12
	v_cndmask_b32_e64 v12, -v17, v17, s2
	v_cndmask_b32_e64 v6, -v6, v6, s2
	;; [unrolled: 1-line block ×3, first 2 shown]
	s_waitcnt lgkmcnt(3)
	v_add_f32_e32 v8, v8, v11
	ds_bpermute_b32 v20, v7, v9
	ds_bpermute_b32 v7, v7, v2
	s_waitcnt lgkmcnt(3)
	v_dual_add_f32 v11, v12, v16 :: v_dual_add_f32 v6, v6, v15
	v_add_f32_e32 v12, v13, v19
	v_cndmask_b32_e64 v9, -v9, v9, s2
	v_cndmask_b32_e64 v2, -v2, v2, s2
	ds_bpermute_b32 v18, v4, v11
	v_and_b32_e32 v13, 2, v0
	ds_bpermute_b32 v19, v4, v12
	ds_bpermute_b32 v17, v4, v3
	;; [unrolled: 1-line block ×4, first 2 shown]
	v_cmp_eq_u32_e64 s2, 0, v13
	s_delay_alu instid0(VALU_DEP_1)
	v_cndmask_b32_e64 v12, -v12, v12, s2
	s_waitcnt lgkmcnt(7)
	v_add_f32_e32 v5, v5, v14
	s_waitcnt lgkmcnt(5)
	v_dual_add_f32 v9, v9, v20 :: v_dual_add_f32 v2, v2, v7
	v_cndmask_b32_e64 v7, -v8, v8, s2
	v_cndmask_b32_e64 v8, -v11, v11, s2
	v_xor_b32_e32 v11, 4, v10
	ds_bpermute_b32 v13, v4, v9
	v_cndmask_b32_e64 v9, -v9, v9, s2
	v_cndmask_b32_e64 v3, -v3, v3, s2
	s_waitcnt lgkmcnt(5)
	v_add_f32_e32 v8, v8, v18
	s_waitcnt lgkmcnt(4)
	v_add_f32_e32 v12, v12, v19
	ds_bpermute_b32 v14, v4, v5
	ds_bpermute_b32 v4, v4, v2
	v_cmp_gt_i32_e64 s3, 32, v11
	v_cndmask_b32_e64 v2, -v2, v2, s2
	s_waitcnt lgkmcnt(4)
	v_add_f32_e32 v7, v7, v16
	v_cndmask_b32_e64 v5, -v5, v5, s2
	v_cndmask_b32_e64 v6, -v6, v6, s2
	v_cndmask_b32_e64 v11, v10, v11, s3
	s_waitcnt lgkmcnt(3)
	s_delay_alu instid0(VALU_DEP_2) | instskip(NEXT) | instid1(VALU_DEP_2)
	v_dual_add_f32 v3, v3, v17 :: v_dual_add_f32 v6, v6, v15
	v_lshlrev_b32_e32 v11, 2, v11
	s_waitcnt lgkmcnt(0)
	v_dual_add_f32 v9, v9, v13 :: v_dual_add_f32 v2, v2, v4
	ds_bpermute_b32 v19, v11, v12
	v_and_b32_e32 v13, 4, v0
	ds_bpermute_b32 v17, v11, v7
	ds_bpermute_b32 v18, v11, v8
	;; [unrolled: 1-line block ×4, first 2 shown]
	v_cmp_eq_u32_e64 s2, 0, v13
	s_delay_alu instid0(VALU_DEP_1)
	v_cndmask_b32_e64 v4, -v7, v7, s2
	v_cndmask_b32_e64 v7, -v8, v8, s2
	v_xor_b32_e32 v8, 8, v10
	v_cndmask_b32_e64 v6, -v6, v6, s2
	v_add_f32_e32 v5, v5, v14
	v_cndmask_b32_e64 v3, -v3, v3, s2
	v_cndmask_b32_e64 v12, -v12, v12, s2
	v_cmp_gt_i32_e64 s3, 32, v8
	ds_bpermute_b32 v14, v11, v5
	v_cndmask_b32_e64 v5, -v5, v5, s2
	s_waitcnt lgkmcnt(4)
	v_add_f32_e32 v4, v4, v17
	v_cndmask_b32_e64 v8, v10, v8, s3
	s_waitcnt lgkmcnt(3)
	v_dual_add_f32 v7, v7, v18 :: v_dual_add_f32 v12, v12, v19
	s_delay_alu instid0(VALU_DEP_2)
	v_lshlrev_b32_e32 v8, 2, v8
	ds_bpermute_b32 v13, v11, v9
	ds_bpermute_b32 v11, v11, v2
	v_cndmask_b32_e64 v9, -v9, v9, s2
	v_cndmask_b32_e64 v2, -v2, v2, s2
	ds_bpermute_b32 v18, v8, v7
	s_waitcnt lgkmcnt(5)
	v_add_f32_e32 v3, v3, v16
	ds_bpermute_b32 v17, v8, v4
	ds_bpermute_b32 v19, v8, v12
	;; [unrolled: 1-line block ×3, first 2 shown]
	s_waitcnt lgkmcnt(6)
	v_dual_add_f32 v5, v5, v14 :: v_dual_add_f32 v14, v6, v15
	ds_bpermute_b32 v20, v8, v14
	s_waitcnt lgkmcnt(6)
	v_add_f32_e32 v9, v9, v13
	ds_bpermute_b32 v15, v8, v9
	v_and_b32_e32 v13, 8, v0
	s_delay_alu instid0(VALU_DEP_1)
	v_cmp_eq_u32_e64 s2, 0, v13
	ds_bpermute_b32 v13, v8, v5
	v_cndmask_b32_e64 v5, -v5, v5, s2
	s_waitcnt lgkmcnt(7)
	v_add_f32_e32 v11, v2, v11
	v_cndmask_b32_e64 v2, -v3, v3, s2
	v_cndmask_b32_e64 v3, -v4, v4, s2
	s_waitcnt lgkmcnt(3)
	s_delay_alu instid0(VALU_DEP_2) | instskip(SKIP_3) | instid1(VALU_DEP_3)
	v_add_f32_e32 v2, v2, v16
	v_cndmask_b32_e64 v4, -v7, v7, s2
	v_cndmask_b32_e64 v7, -v12, v12, s2
	v_xor_b32_e32 v12, 16, v10
	v_dual_add_f32 v3, v3, v17 :: v_dual_add_f32 v6, v4, v18
	s_delay_alu instid0(VALU_DEP_3) | instskip(NEXT) | instid1(VALU_DEP_3)
	v_add_f32_e32 v7, v7, v19
	v_cmp_gt_i32_e64 s3, 32, v12
	s_delay_alu instid0(VALU_DEP_1)
	v_cndmask_b32_e64 v4, v10, v12, s3
	v_cndmask_b32_e64 v10, -v14, v14, s2
	s_waitcnt lgkmcnt(0)
	v_add_f32_e32 v14, v5, v13
	ds_bpermute_b32 v8, v8, v11
	v_cndmask_b32_e64 v11, -v11, v11, s2
	v_lshlrev_b32_e32 v17, 2, v4
	ds_bpermute_b32 v4, v17, v2
	ds_bpermute_b32 v5, v17, v3
	s_waitcnt lgkmcnt(2)
	v_add_f32_e32 v16, v11, v8
	v_cndmask_b32_e64 v9, -v9, v9, s2
	ds_bpermute_b32 v8, v17, v6
	ds_bpermute_b32 v11, v17, v14
	v_dual_add_f32 v12, v9, v15 :: v_dual_add_f32 v15, v10, v20
	ds_bpermute_b32 v9, v17, v7
	ds_bpermute_b32 v10, v17, v12
	;; [unrolled: 1-line block ×4, first 2 shown]
	s_and_saveexec_b32 s2, vcc_lo
	s_cbranch_execz .LBB18_4
; %bb.3:
	s_load_b64 s[2:3], s[0:1], 0x18
	v_and_b32_e32 v0, 16, v0
	s_clause 0x1
	s_load_b64 s[6:7], s[0:1], 0x30
	s_load_b32 s5, s[0:1], 0x20
	s_delay_alu instid0(VALU_DEP_1)
	v_cmp_eq_u32_e32 vcc_lo, 0, v0
	v_cndmask_b32_e64 v15, -v15, v15, vcc_lo
	v_cndmask_b32_e64 v12, -v12, v12, vcc_lo
	;; [unrolled: 1-line block ×5, first 2 shown]
	s_waitcnt lgkmcnt(0)
	v_add_f32_e32 v13, v15, v13
	v_cndmask_b32_e64 v14, -v14, v14, vcc_lo
	v_cndmask_b32_e64 v7, -v7, v7, vcc_lo
	;; [unrolled: 1-line block ×3, first 2 shown]
	v_add_f32_e32 v10, v12, v10
	v_add_f32_e32 v6, v6, v8
	s_delay_alu instid0(VALU_DEP_4)
	v_dual_add_f32 v2, v2, v4 :: v_dual_add_f32 v7, v7, v9
	s_mul_i32 s0, s2, s4
	s_mul_hi_u32 s1, s2, s15
	v_dual_add_f32 v0, v0, v17 :: v_dual_add_f32 v11, v14, v11
	v_add_f32_e32 v8, v3, v5
	v_fma_mixlo_f16 v5, s5, v13, 0
	v_fma_mixlo_f16 v4, s5, v10, 0
	v_fma_mixlo_f16 v3, s5, v6, 0
	v_fma_mixlo_f16 v2, s5, v2, 0
	s_mul_i32 s3, s3, s15
	s_add_i32 s1, s1, s0
	s_mul_i32 s0, s2, s15
	s_add_i32 s1, s1, s3
	v_fma_mixhi_f16 v5, s5, v0, 0
	s_lshl_b64 s[0:1], s[0:1], 1
	v_fma_mixhi_f16 v4, s5, v11, 0
	v_fma_mixhi_f16 v3, s5, v7, 0
	;; [unrolled: 1-line block ×3, first 2 shown]
	s_add_u32 s0, s6, s0
	s_addc_u32 s1, s7, s1
	global_store_b128 v1, v[2:5], s[0:1]
.LBB18_4:
	s_nop 0
	s_sendmsg sendmsg(MSG_DEALLOC_VGPRS)
	s_endpgm
	.section	.rodata,"a",@progbits
	.p2align	6, 0x0
	.amdhsa_kernel _Z30fast_hadamard_transform_kernelI37fast_hadamard_transform_kernel_traitsILi32ELi8E6__halfEEv18HadamardParamsBase
		.amdhsa_group_segment_fixed_size 0
		.amdhsa_private_segment_fixed_size 0
		.amdhsa_kernarg_size 56
		.amdhsa_user_sgpr_count 15
		.amdhsa_user_sgpr_dispatch_ptr 0
		.amdhsa_user_sgpr_queue_ptr 0
		.amdhsa_user_sgpr_kernarg_segment_ptr 1
		.amdhsa_user_sgpr_dispatch_id 0
		.amdhsa_user_sgpr_private_segment_size 0
		.amdhsa_wavefront_size32 1
		.amdhsa_uses_dynamic_stack 0
		.amdhsa_enable_private_segment 0
		.amdhsa_system_sgpr_workgroup_id_x 1
		.amdhsa_system_sgpr_workgroup_id_y 0
		.amdhsa_system_sgpr_workgroup_id_z 0
		.amdhsa_system_sgpr_workgroup_info 0
		.amdhsa_system_vgpr_workitem_id 0
		.amdhsa_next_free_vgpr 21
		.amdhsa_next_free_sgpr 16
		.amdhsa_reserve_vcc 1
		.amdhsa_float_round_mode_32 0
		.amdhsa_float_round_mode_16_64 0
		.amdhsa_float_denorm_mode_32 3
		.amdhsa_float_denorm_mode_16_64 3
		.amdhsa_dx10_clamp 1
		.amdhsa_ieee_mode 1
		.amdhsa_fp16_overflow 0
		.amdhsa_workgroup_processor_mode 1
		.amdhsa_memory_ordered 1
		.amdhsa_forward_progress 0
		.amdhsa_shared_vgpr_count 0
		.amdhsa_exception_fp_ieee_invalid_op 0
		.amdhsa_exception_fp_denorm_src 0
		.amdhsa_exception_fp_ieee_div_zero 0
		.amdhsa_exception_fp_ieee_overflow 0
		.amdhsa_exception_fp_ieee_underflow 0
		.amdhsa_exception_fp_ieee_inexact 0
		.amdhsa_exception_int_div_zero 0
	.end_amdhsa_kernel
	.section	.text._Z30fast_hadamard_transform_kernelI37fast_hadamard_transform_kernel_traitsILi32ELi8E6__halfEEv18HadamardParamsBase,"axG",@progbits,_Z30fast_hadamard_transform_kernelI37fast_hadamard_transform_kernel_traitsILi32ELi8E6__halfEEv18HadamardParamsBase,comdat
.Lfunc_end18:
	.size	_Z30fast_hadamard_transform_kernelI37fast_hadamard_transform_kernel_traitsILi32ELi8E6__halfEEv18HadamardParamsBase, .Lfunc_end18-_Z30fast_hadamard_transform_kernelI37fast_hadamard_transform_kernel_traitsILi32ELi8E6__halfEEv18HadamardParamsBase
                                        ; -- End function
	.section	.AMDGPU.csdata,"",@progbits
; Kernel info:
; codeLenInByte = 1572
; NumSgprs: 18
; NumVgprs: 21
; ScratchSize: 0
; MemoryBound: 0
; FloatMode: 240
; IeeeMode: 1
; LDSByteSize: 0 bytes/workgroup (compile time only)
; SGPRBlocks: 2
; VGPRBlocks: 2
; NumSGPRsForWavesPerEU: 18
; NumVGPRsForWavesPerEU: 21
; Occupancy: 16
; WaveLimiterHint : 0
; COMPUTE_PGM_RSRC2:SCRATCH_EN: 0
; COMPUTE_PGM_RSRC2:USER_SGPR: 15
; COMPUTE_PGM_RSRC2:TRAP_HANDLER: 0
; COMPUTE_PGM_RSRC2:TGID_X_EN: 1
; COMPUTE_PGM_RSRC2:TGID_Y_EN: 0
; COMPUTE_PGM_RSRC2:TGID_Z_EN: 0
; COMPUTE_PGM_RSRC2:TIDIG_COMP_CNT: 0
	.section	.text._Z30fast_hadamard_transform_kernelI37fast_hadamard_transform_kernel_traitsILi32ELi9E6__halfEEv18HadamardParamsBase,"axG",@progbits,_Z30fast_hadamard_transform_kernelI37fast_hadamard_transform_kernel_traitsILi32ELi9E6__halfEEv18HadamardParamsBase,comdat
	.protected	_Z30fast_hadamard_transform_kernelI37fast_hadamard_transform_kernel_traitsILi32ELi9E6__halfEEv18HadamardParamsBase ; -- Begin function _Z30fast_hadamard_transform_kernelI37fast_hadamard_transform_kernel_traitsILi32ELi9E6__halfEEv18HadamardParamsBase
	.globl	_Z30fast_hadamard_transform_kernelI37fast_hadamard_transform_kernel_traitsILi32ELi9E6__halfEEv18HadamardParamsBase
	.p2align	8
	.type	_Z30fast_hadamard_transform_kernelI37fast_hadamard_transform_kernel_traitsILi32ELi9E6__halfEEv18HadamardParamsBase,@function
_Z30fast_hadamard_transform_kernelI37fast_hadamard_transform_kernel_traitsILi32ELi9E6__halfEEv18HadamardParamsBase: ; @_Z30fast_hadamard_transform_kernelI37fast_hadamard_transform_kernel_traitsILi32ELi9E6__halfEEv18HadamardParamsBase
; %bb.0:
	s_clause 0x3
	s_load_b128 s[8:11], s[0:1], 0x10
	s_load_b32 s2, s[0:1], 0x4
	s_load_b128 s[4:7], s[0:1], 0x28
	s_load_b32 s3, s[0:1], 0x44
	s_ashr_i32 s12, s15, 31
	v_dual_mov_b32 v11, 0 :: v_dual_lshlrev_b32 v2, 3, v0
	v_dual_mov_b32 v3, 0 :: v_dual_mov_b32 v4, 0
	v_dual_mov_b32 v5, 0 :: v_dual_mov_b32 v6, 0
	v_dual_mov_b32 v7, 0 :: v_dual_mov_b32 v8, 0
	v_dual_mov_b32 v9, 0 :: v_dual_mov_b32 v10, 0
	v_lshlrev_b32_e32 v1, 4, v0
	s_waitcnt lgkmcnt(0)
	s_mul_hi_u32 s13, s8, s15
	s_mul_i32 s14, s8, s12
	s_mul_i32 s9, s9, s15
	s_add_i32 s13, s13, s14
	s_mul_i32 s8, s8, s15
	s_add_i32 s9, s13, s9
	v_cmp_gt_u32_e32 vcc_lo, s2, v2
	s_lshl_b64 s[8:9], s[8:9], 1
	s_delay_alu instid0(SALU_CYCLE_1)
	s_add_u32 s4, s4, s8
	s_addc_u32 s5, s5, s9
	s_and_saveexec_b32 s8, vcc_lo
	s_cbranch_execz .LBB19_2
; %bb.1:
	global_load_b128 v[4:7], v1, s[4:5]
	s_waitcnt vmcnt(0)
	v_lshrrev_b32_e32 v2, 16, v4
	v_lshrrev_b32_e32 v9, 16, v5
	;; [unrolled: 1-line block ×4, first 2 shown]
	v_cvt_f32_f16_e32 v11, v4
	v_cvt_f32_f16_e32 v8, v5
	;; [unrolled: 1-line block ×8, first 2 shown]
.LBB19_2:
	s_or_b32 exec_lo, exec_lo, s8
	s_and_b32 s3, 0xffff, s3
	v_dual_mov_b32 v12, 0 :: v_dual_mov_b32 v17, 0
	v_dual_mov_b32 v13, 0 :: v_dual_add_nc_u32 v2, s3, v0
	v_dual_mov_b32 v16, 0 :: v_dual_mov_b32 v15, 0
	v_mov_b32_e32 v14, 0
	s_delay_alu instid0(VALU_DEP_3) | instskip(SKIP_1) | instid1(VALU_DEP_2)
	v_lshlrev_b32_e32 v18, 3, v2
	v_lshlrev_b32_e32 v2, 4, v2
	v_cmp_gt_u32_e64 s2, s2, v18
	v_mov_b32_e32 v18, 0
	s_delay_alu instid0(VALU_DEP_2)
	s_and_saveexec_b32 s3, s2
	s_cbranch_execz .LBB19_4
; %bb.3:
	global_load_b128 v[16:19], v2, s[4:5]
	s_waitcnt vmcnt(0)
	v_cvt_f32_f16_e32 v15, v16
	v_lshrrev_b32_e32 v13, 16, v16
	v_lshrrev_b32_e32 v16, 16, v17
	;; [unrolled: 1-line block ×4, first 2 shown]
	v_cvt_f32_f16_e32 v14, v17
	v_cvt_f32_f16_e32 v12, v18
	v_cvt_f32_f16_e32 v3, v19
	v_cvt_f32_f16_e32 v18, v13
	v_cvt_f32_f16_e32 v17, v16
	v_cvt_f32_f16_e32 v16, v20
	v_cvt_f32_f16_e32 v13, v21
.LBB19_4:
	s_or_b32 exec_lo, exec_lo, s3
	v_mbcnt_lo_u32_b32 v20, -1, 0
	s_load_b32 s3, s[0:1], 0x20
	v_dual_add_f32 v19, v10, v11 :: v_dual_sub_f32 v10, v11, v10
	v_add_f32_e32 v11, v18, v15
	s_delay_alu instid0(VALU_DEP_3)
	v_xor_b32_e32 v21, 1, v20
	v_dual_sub_f32 v15, v15, v18 :: v_dual_add_f32 v18, v9, v8
	v_dual_sub_f32 v8, v8, v9 :: v_dual_add_f32 v9, v17, v14
	;; [unrolled: 1-line block ×4, first 2 shown]
	v_sub_f32_e32 v12, v12, v16
	v_add_f32_e32 v16, v5, v4
	v_cmp_gt_i32_e64 s0, 32, v21
	v_dual_sub_f32 v4, v4, v5 :: v_dual_add_f32 v5, v13, v3
	v_sub_f32_e32 v3, v3, v13
	v_dual_add_f32 v13, v18, v19 :: v_dual_sub_f32 v18, v19, v18
	v_add_f32_e32 v19, v9, v11
	v_sub_f32_e32 v9, v11, v9
	v_dual_add_f32 v11, v8, v10 :: v_dual_sub_f32 v8, v10, v8
	v_add_f32_e32 v10, v14, v15
	v_dual_sub_f32 v14, v15, v14 :: v_dual_add_f32 v15, v16, v17
	v_cndmask_b32_e64 v21, v20, v21, s0
	v_sub_f32_e32 v16, v17, v16
	v_add_f32_e32 v17, v5, v7
	v_sub_f32_e32 v5, v7, v5
	v_dual_add_f32 v7, v4, v6 :: v_dual_sub_f32 v4, v6, v4
	v_dual_add_f32 v6, v3, v12 :: v_dual_sub_f32 v3, v12, v3
	v_add_f32_e32 v12, v15, v13
	v_lshlrev_b32_e32 v21, 2, v21
	v_sub_f32_e32 v13, v13, v15
	v_add_f32_e32 v15, v17, v19
	v_sub_f32_e32 v17, v19, v17
	v_dual_add_f32 v19, v7, v11 :: v_dual_add_f32 v26, v4, v8
	v_add_f32_e32 v22, v6, v10
	v_sub_f32_e32 v6, v10, v6
	v_sub_f32_e32 v4, v8, v4
	ds_bpermute_b32 v10, v21, v12
	v_sub_f32_e32 v7, v11, v7
	ds_bpermute_b32 v23, v21, v19
	v_dual_add_f32 v11, v16, v18 :: v_dual_sub_f32 v16, v18, v16
	v_and_b32_e32 v18, 1, v0
	ds_bpermute_b32 v28, v21, v4
	v_xor_b32_e32 v32, 16, v20
	s_mul_hi_u32 s4, s10, s15
	ds_bpermute_b32 v27, v21, v16
	v_cmp_eq_u32_e64 s0, 0, v18
	s_mul_i32 s5, s11, s15
	s_delay_alu instid0(VALU_DEP_1)
	v_cndmask_b32_e64 v8, -v12, v12, s0
	ds_bpermute_b32 v12, v21, v13
	v_cndmask_b32_e64 v19, -v19, v19, s0
	v_cndmask_b32_e64 v13, -v13, v13, s0
	v_add_f32_e32 v29, v3, v14
	s_waitcnt lgkmcnt(0)
	v_add_f32_e32 v8, v8, v10
	ds_bpermute_b32 v18, v21, v7
	v_add_f32_e32 v10, v19, v23
	ds_bpermute_b32 v24, v21, v11
	v_cndmask_b32_e64 v7, -v7, v7, s0
	v_cndmask_b32_e64 v16, -v16, v16, s0
	;; [unrolled: 1-line block ×3, first 2 shown]
	ds_bpermute_b32 v19, v21, v15
	v_cndmask_b32_e64 v4, -v4, v4, s0
	v_add_f32_e32 v25, v5, v9
	v_sub_f32_e32 v5, v9, v5
	ds_bpermute_b32 v9, v21, v26
	ds_bpermute_b32 v23, v21, v22
	v_add_f32_e32 v4, v4, v28
	v_dual_add_f32 v12, v13, v12 :: v_dual_add_f32 v13, v16, v27
	ds_bpermute_b32 v16, v21, v29
	s_waitcnt lgkmcnt(5)
	v_add_f32_e32 v7, v7, v18
	v_xor_b32_e32 v18, 2, v20
	s_delay_alu instid0(VALU_DEP_1) | instskip(NEXT) | instid1(VALU_DEP_1)
	v_cmp_gt_i32_e64 s1, 32, v18
	v_cndmask_b32_e64 v18, v20, v18, s1
	v_sub_f32_e32 v3, v14, v3
	v_cndmask_b32_e64 v14, -v26, v26, s0
	ds_bpermute_b32 v26, v21, v6
	v_cndmask_b32_e64 v6, -v6, v6, s0
	s_waitcnt lgkmcnt(5)
	v_dual_add_f32 v11, v11, v24 :: v_dual_lshlrev_b32 v18, 2, v18
	ds_bpermute_b32 v24, v21, v25
	s_waitcnt lgkmcnt(4)
	v_add_f32_e32 v9, v14, v9
	v_cndmask_b32_e64 v14, -v15, v15, s0
	v_cndmask_b32_e64 v15, -v22, v22, s0
	v_cndmask_b32_e64 v22, -v25, v25, s0
	ds_bpermute_b32 v25, v21, v17
	v_cndmask_b32_e64 v17, -v17, v17, s0
	v_add_f32_e32 v14, v14, v19
	ds_bpermute_b32 v27, v21, v5
	v_cndmask_b32_e64 v5, -v5, v5, s0
	ds_bpermute_b32 v21, v21, v3
	v_cndmask_b32_e64 v3, -v3, v3, s0
	s_waitcnt lgkmcnt(4)
	v_add_f32_e32 v6, v6, v26
	ds_bpermute_b32 v28, v18, v11
	s_waitcnt lgkmcnt(4)
	v_add_f32_e32 v19, v22, v24
	v_cndmask_b32_e64 v22, -v29, v29, s0
	ds_bpermute_b32 v24, v18, v10
	v_add_f32_e32 v16, v22, v16
	v_and_b32_e32 v22, 2, v0
	ds_bpermute_b32 v29, v18, v9
	v_cmp_eq_u32_e64 s0, 0, v22
	ds_bpermute_b32 v22, v18, v12
	v_cndmask_b32_e64 v10, -v10, v10, s0
	v_cndmask_b32_e64 v12, -v12, v12, s0
	v_add_f32_e32 v15, v15, v23
	ds_bpermute_b32 v23, v18, v8
	v_cndmask_b32_e64 v11, -v11, v11, s0
	s_waitcnt lgkmcnt(3)
	v_add_f32_e32 v10, v10, v24
	ds_bpermute_b32 v26, v18, v13
	v_cndmask_b32_e64 v13, -v13, v13, s0
	v_cndmask_b32_e64 v8, -v8, v8, s0
	;; [unrolled: 1-line block ×3, first 2 shown]
	s_waitcnt lgkmcnt(2)
	v_add_f32_e32 v12, v12, v22
	v_xor_b32_e32 v22, 4, v20
	s_delay_alu instid0(VALU_DEP_1)
	v_cmp_gt_i32_e64 s1, 32, v22
	s_waitcnt lgkmcnt(1)
	v_add_f32_e32 v8, v8, v23
	ds_bpermute_b32 v23, v18, v15
	ds_bpermute_b32 v24, v18, v19
	s_waitcnt lgkmcnt(2)
	v_add_f32_e32 v13, v13, v26
	ds_bpermute_b32 v26, v18, v6
	v_cndmask_b32_e64 v6, -v6, v6, s0
	v_add_f32_e32 v11, v11, v28
	ds_bpermute_b32 v28, v18, v16
	v_cndmask_b32_e64 v16, -v16, v16, s0
	v_add_f32_e32 v3, v3, v21
	ds_bpermute_b32 v21, v18, v14
	v_cndmask_b32_e64 v14, -v14, v14, s0
	v_add_f32_e32 v5, v5, v27
	ds_bpermute_b32 v27, v18, v4
	v_cndmask_b32_e64 v4, -v4, v4, s0
	v_add_f32_e32 v17, v17, v25
	ds_bpermute_b32 v25, v18, v7
	v_cndmask_b32_e64 v22, v20, v22, s1
	v_cndmask_b32_e64 v7, -v7, v7, s0
	v_cndmask_b32_e64 v15, -v15, v15, s0
	;; [unrolled: 1-line block ×3, first 2 shown]
	s_waitcnt lgkmcnt(4)
	s_delay_alu instid0(VALU_DEP_2)
	v_dual_add_f32 v15, v15, v23 :: v_dual_add_f32 v6, v6, v26
	s_waitcnt lgkmcnt(3)
	v_add_f32_e32 v16, v16, v28
	s_waitcnt lgkmcnt(2)
	v_dual_add_f32 v14, v14, v21 :: v_dual_lshlrev_b32 v21, 2, v22
	s_waitcnt lgkmcnt(1)
	v_add_f32_e32 v4, v4, v27
	ds_bpermute_b32 v27, v18, v5
	v_cndmask_b32_e64 v5, -v5, v5, s0
	ds_bpermute_b32 v22, v21, v8
	v_add_f32_e32 v9, v9, v29
	v_and_b32_e32 v29, 4, v0
	ds_bpermute_b32 v23, v21, v10
	s_waitcnt lgkmcnt(3)
	v_add_f32_e32 v7, v7, v25
	ds_bpermute_b32 v25, v18, v17
	ds_bpermute_b32 v18, v18, v3
	v_cndmask_b32_e64 v17, -v17, v17, s0
	v_cndmask_b32_e64 v3, -v3, v3, s0
	v_cmp_eq_u32_e64 s0, 0, v29
	ds_bpermute_b32 v29, v21, v14
	v_cndmask_b32_e64 v14, -v14, v14, s0
	v_add_f32_e32 v19, v19, v24
	ds_bpermute_b32 v24, v21, v11
	v_cndmask_b32_e64 v11, -v11, v11, s0
	s_waitcnt lgkmcnt(6)
	v_add_f32_e32 v5, v5, v27
	v_cndmask_b32_e64 v8, -v8, v8, s0
	v_cndmask_b32_e64 v10, -v10, v10, s0
	s_waitcnt lgkmcnt(5)
	s_delay_alu instid0(VALU_DEP_2) | instskip(SKIP_1) | instid1(VALU_DEP_2)
	v_add_f32_e32 v8, v8, v22
	s_waitcnt lgkmcnt(2)
	v_dual_add_f32 v10, v10, v23 :: v_dual_add_f32 v3, v3, v18
	s_waitcnt lgkmcnt(0)
	v_dual_add_f32 v14, v14, v29 :: v_dual_add_f32 v11, v11, v24
	ds_bpermute_b32 v24, v21, v16
	v_cndmask_b32_e64 v16, -v16, v16, s0
	s_waitcnt lgkmcnt(0)
	s_delay_alu instid0(VALU_DEP_1)
	v_add_f32_e32 v16, v16, v24
	ds_bpermute_b32 v27, v21, v4
	ds_bpermute_b32 v18, v21, v12
	v_cndmask_b32_e64 v4, -v4, v4, s0
	v_cndmask_b32_e64 v12, -v12, v12, s0
	ds_bpermute_b32 v28, v21, v9
	ds_bpermute_b32 v23, v21, v19
	v_cndmask_b32_e64 v9, -v9, v9, s0
	v_cndmask_b32_e64 v19, -v19, v19, s0
	s_waitcnt lgkmcnt(3)
	v_add_f32_e32 v4, v4, v27
	ds_bpermute_b32 v26, v21, v13
	s_waitcnt lgkmcnt(3)
	v_add_f32_e32 v12, v12, v18
	ds_bpermute_b32 v22, v21, v15
	v_cndmask_b32_e64 v13, -v13, v13, s0
	v_cndmask_b32_e64 v15, -v15, v15, s0
	ds_bpermute_b32 v18, v21, v6
	s_waitcnt lgkmcnt(3)
	v_add_f32_e32 v19, v19, v23
	v_cndmask_b32_e64 v6, -v6, v6, s0
	s_waitcnt lgkmcnt(2)
	v_add_f32_e32 v13, v13, v26
	v_xor_b32_e32 v26, 8, v20
	s_waitcnt lgkmcnt(1)
	v_add_f32_e32 v15, v15, v22
	s_waitcnt lgkmcnt(0)
	v_add_f32_e32 v6, v6, v18
	v_cmp_gt_i32_e64 s1, 32, v26
	s_delay_alu instid0(VALU_DEP_1)
	v_cndmask_b32_e64 v22, v20, v26, s1
	v_add_f32_e32 v17, v17, v25
	ds_bpermute_b32 v25, v21, v7
	v_cmp_gt_i32_e64 s1, 32, v32
	v_cndmask_b32_e64 v7, -v7, v7, s0
	v_lshlrev_b32_e32 v22, 2, v22
	s_delay_alu instid0(VALU_DEP_3)
	v_cndmask_b32_e64 v20, v20, v32, s1
	s_mul_i32 s1, s10, s12
	ds_bpermute_b32 v30, v22, v14
	v_add_f32_e32 v9, v9, v28
	ds_bpermute_b32 v28, v21, v17
	v_lshlrev_b32_e32 v20, 2, v20
	v_cndmask_b32_e64 v17, -v17, v17, s0
	ds_bpermute_b32 v32, v22, v6
	ds_bpermute_b32 v33, v22, v16
	s_add_i32 s4, s4, s1
	ds_bpermute_b32 v18, v22, v8
	ds_bpermute_b32 v31, v22, v19
	s_add_i32 s5, s4, s5
	s_mul_i32 s4, s10, s15
	s_waitcnt lgkmcnt(6)
	v_add_f32_e32 v7, v7, v25
	ds_bpermute_b32 v25, v21, v5
	v_cndmask_b32_e64 v5, -v5, v5, s0
	s_lshl_b64 s[4:5], s[4:5], 1
	s_waitcnt lgkmcnt(5)
	v_add_f32_e32 v17, v17, v28
	ds_bpermute_b32 v28, v22, v4
	s_waitcnt lgkmcnt(1)
	v_add_f32_e32 v5, v5, v25
	ds_bpermute_b32 v25, v22, v12
	v_and_b32_e32 v23, 8, v0
	v_and_b32_e32 v0, 16, v0
	ds_bpermute_b32 v21, v21, v3
	v_cndmask_b32_e64 v3, -v3, v3, s0
	ds_bpermute_b32 v36, v22, v5
	v_cmp_eq_u32_e64 s0, 0, v23
	v_cmp_eq_u32_e64 s1, 0, v0
	s_delay_alu instid0(VALU_DEP_2)
	v_cndmask_b32_e64 v37, -v5, v5, s0
	v_cndmask_b32_e64 v35, -v6, v6, s0
	;; [unrolled: 1-line block ×7, first 2 shown]
	s_delay_alu instid0(VALU_DEP_3) | instskip(NEXT) | instid1(VALU_DEP_3)
	v_add_f32_e32 v6, v8, v18
	v_add_f32_e32 v8, v14, v30
	s_waitcnt lgkmcnt(2)
	s_delay_alu instid0(VALU_DEP_3)
	v_add_f32_e32 v12, v12, v25
	s_waitcnt lgkmcnt(1)
	v_add_f32_e32 v3, v3, v21
	ds_bpermute_b32 v21, v22, v10
	v_cndmask_b32_e64 v10, -v10, v10, s0
	ds_bpermute_b32 v24, v22, v9
	ds_bpermute_b32 v23, v22, v11
	v_cndmask_b32_e64 v9, -v9, v9, s0
	ds_bpermute_b32 v14, v20, v6
	v_cndmask_b32_e64 v11, -v11, v11, s0
	ds_bpermute_b32 v18, v20, v8
	v_add_f32_e32 v25, v29, v28
	s_waitcnt lgkmcnt(4)
	v_add_f32_e32 v5, v10, v21
	ds_bpermute_b32 v21, v22, v3
	s_waitcnt lgkmcnt(4)
	v_add_f32_e32 v9, v9, v24
	v_cndmask_b32_e64 v24, -v3, v3, s0
	v_cndmask_b32_e64 v3, -v6, v6, s1
	ds_bpermute_b32 v10, v20, v5
	v_cndmask_b32_e64 v0, -v5, v5, s1
	s_waitcnt lgkmcnt(4)
	v_add_f32_e32 v6, v11, v23
	v_cndmask_b32_e64 v5, -v8, v8, s1
	v_cndmask_b32_e64 v8, -v9, v9, s1
	ds_bpermute_b32 v11, v20, v6
	s_waitcnt lgkmcnt(2)
	v_dual_add_f32 v21, v24, v21 :: v_dual_add_f32 v24, v37, v36
	s_waitcnt lgkmcnt(1)
	v_add_f32_e32 v0, v0, v10
	v_add_f32_e32 v10, v16, v33
	ds_bpermute_b32 v4, v22, v15
	v_cndmask_b32_e64 v15, -v15, v15, s0
	ds_bpermute_b32 v26, v22, v7
	v_cndmask_b32_e64 v7, -v7, v7, s0
	;; [unrolled: 2-line block ×3, first 2 shown]
	v_add_f32_e32 v3, v3, v14
	v_cndmask_b32_e64 v14, -v6, v6, s1
	ds_bpermute_b32 v29, v20, v21
	s_waitcnt lgkmcnt(3)
	v_add_f32_e32 v4, v15, v4
	ds_bpermute_b32 v27, v22, v13
	v_cndmask_b32_e64 v13, -v13, v13, s0
	ds_bpermute_b32 v15, v20, v4
	v_cndmask_b32_e64 v4, -v4, v4, s1
	s_waitcnt lgkmcnt(1)
	v_add_f32_e32 v13, v13, v27
	ds_bpermute_b32 v27, v20, v25
	s_waitcnt lgkmcnt(1)
	v_add_f32_e32 v4, v4, v15
	ds_bpermute_b32 v34, v22, v17
	ds_bpermute_b32 v22, v20, v9
	v_cndmask_b32_e64 v17, -v17, v17, s0
	v_add_f32_e32 v15, v7, v26
	v_add_f32_e32 v7, v14, v11
	v_cndmask_b32_e64 v14, -v12, v12, s1
	ds_bpermute_b32 v28, v20, v13
	s_waitcnt lgkmcnt(2)
	v_add_f32_e32 v17, v17, v34
	s_waitcnt lgkmcnt(1)
	v_add_f32_e32 v6, v8, v22
	ds_bpermute_b32 v22, v20, v12
	v_cndmask_b32_e64 v19, -v19, v19, s0
	v_add_f32_e32 v12, v10, v16
	ds_bpermute_b32 v26, v20, v17
	v_cndmask_b32_e64 v16, -v13, v13, s1
	v_dual_add_f32 v5, v5, v18 :: v_dual_add_f32 v18, v35, v32
	s_add_u32 s0, s6, s4
	s_waitcnt lgkmcnt(2)
	s_delay_alu instid0(VALU_DEP_2)
	v_add_f32_e32 v16, v16, v28
	ds_bpermute_b32 v23, v20, v18
	s_waitcnt lgkmcnt(2)
	v_add_f32_e32 v10, v14, v22
	v_cndmask_b32_e64 v14, -v17, v17, s1
	v_add_f32_e32 v9, v19, v31
	v_cndmask_b32_e64 v17, -v21, v21, s1
	s_waitcnt lgkmcnt(1)
	s_delay_alu instid0(VALU_DEP_3) | instskip(SKIP_3) | instid1(VALU_DEP_1)
	v_add_f32_e32 v14, v14, v26
	ds_bpermute_b32 v8, v20, v9
	v_cndmask_b32_e64 v9, -v9, v9, s1
	s_waitcnt lgkmcnt(0)
	v_add_f32_e32 v8, v9, v8
	ds_bpermute_b32 v19, v20, v15
	ds_bpermute_b32 v20, v20, v24
	v_cndmask_b32_e64 v11, -v15, v15, s1
	v_cndmask_b32_e64 v15, -v18, v18, s1
	v_cndmask_b32_e64 v18, -v24, v24, s1
	s_waitcnt lgkmcnt(1)
	s_delay_alu instid0(VALU_DEP_3) | instskip(NEXT) | instid1(VALU_DEP_3)
	v_add_f32_e32 v9, v11, v19
	v_add_f32_e32 v11, v15, v23
	v_cndmask_b32_e64 v15, -v25, v25, s1
	s_addc_u32 s1, s7, s5
	s_delay_alu instid0(VALU_DEP_1)
	v_add_f32_e32 v13, v15, v27
	v_add_f32_e32 v15, v17, v29
	s_waitcnt lgkmcnt(0)
	v_add_f32_e32 v17, v18, v20
	s_and_saveexec_b32 s4, vcc_lo
	s_cbranch_execnz .LBB19_7
; %bb.5:
	s_or_b32 exec_lo, exec_lo, s4
	s_and_saveexec_b32 s4, s2
	s_cbranch_execnz .LBB19_8
.LBB19_6:
	s_nop 0
	s_sendmsg sendmsg(MSG_DEALLOC_VGPRS)
	s_endpgm
.LBB19_7:
	v_dual_add_f32 v22, v13, v15 :: v_dual_add_f32 v19, v10, v14
	s_delay_alu instid0(VALU_DEP_2) | instskip(SKIP_3) | instid1(VALU_DEP_4)
	v_dual_add_f32 v18, v16, v17 :: v_dual_add_f32 v23, v9, v11
	v_add_f32_e32 v25, v7, v8
	v_dual_add_f32 v26, v3, v5 :: v_dual_add_f32 v27, v0, v4
	v_add_f32_e32 v24, v6, v12
	v_fma_mixlo_f16 v21, s3, v18, 0
	v_fma_mixlo_f16 v20, s3, v19, 0
	;; [unrolled: 1-line block ×4, first 2 shown]
	s_delay_alu instid0(VALU_DEP_4) | instskip(NEXT) | instid1(VALU_DEP_4)
	v_fma_mixhi_f16 v21, s3, v22, 0
	v_fma_mixhi_f16 v20, s3, v23, 0
	s_delay_alu instid0(VALU_DEP_4) | instskip(NEXT) | instid1(VALU_DEP_4)
	v_fma_mixhi_f16 v19, s3, v24, 0
	v_fma_mixhi_f16 v18, s3, v27, 0
	global_store_b128 v1, v[18:21], s[0:1]
	s_or_b32 exec_lo, exec_lo, s4
	s_and_saveexec_b32 s4, s2
	s_cbranch_execz .LBB19_6
.LBB19_8:
	v_dual_sub_f32 v0, v0, v4 :: v_dual_sub_f32 v1, v3, v5
	v_dual_sub_f32 v12, v6, v12 :: v_dual_sub_f32 v3, v16, v17
	;; [unrolled: 1-line block ×3, first 2 shown]
	v_sub_f32_e32 v8, v9, v11
	v_sub_f32_e32 v9, v13, v15
	s_delay_alu instid0(VALU_DEP_4) | instskip(NEXT) | instid1(VALU_DEP_4)
	v_fma_mixlo_f16 v6, s3, v3, 0
	v_fma_mixlo_f16 v5, s3, v4, 0
	;; [unrolled: 1-line block ×4, first 2 shown]
	s_delay_alu instid0(VALU_DEP_4) | instskip(NEXT) | instid1(VALU_DEP_4)
	v_fma_mixhi_f16 v6, s3, v9, 0
	v_fma_mixhi_f16 v5, s3, v8, 0
	s_delay_alu instid0(VALU_DEP_4) | instskip(NEXT) | instid1(VALU_DEP_4)
	v_fma_mixhi_f16 v4, s3, v12, 0
	v_fma_mixhi_f16 v3, s3, v0, 0
	global_store_b128 v2, v[3:6], s[0:1]
	s_nop 0
	s_sendmsg sendmsg(MSG_DEALLOC_VGPRS)
	s_endpgm
	.section	.rodata,"a",@progbits
	.p2align	6, 0x0
	.amdhsa_kernel _Z30fast_hadamard_transform_kernelI37fast_hadamard_transform_kernel_traitsILi32ELi9E6__halfEEv18HadamardParamsBase
		.amdhsa_group_segment_fixed_size 0
		.amdhsa_private_segment_fixed_size 0
		.amdhsa_kernarg_size 312
		.amdhsa_user_sgpr_count 15
		.amdhsa_user_sgpr_dispatch_ptr 0
		.amdhsa_user_sgpr_queue_ptr 0
		.amdhsa_user_sgpr_kernarg_segment_ptr 1
		.amdhsa_user_sgpr_dispatch_id 0
		.amdhsa_user_sgpr_private_segment_size 0
		.amdhsa_wavefront_size32 1
		.amdhsa_uses_dynamic_stack 0
		.amdhsa_enable_private_segment 0
		.amdhsa_system_sgpr_workgroup_id_x 1
		.amdhsa_system_sgpr_workgroup_id_y 0
		.amdhsa_system_sgpr_workgroup_id_z 0
		.amdhsa_system_sgpr_workgroup_info 0
		.amdhsa_system_vgpr_workitem_id 0
		.amdhsa_next_free_vgpr 38
		.amdhsa_next_free_sgpr 16
		.amdhsa_reserve_vcc 1
		.amdhsa_float_round_mode_32 0
		.amdhsa_float_round_mode_16_64 0
		.amdhsa_float_denorm_mode_32 3
		.amdhsa_float_denorm_mode_16_64 3
		.amdhsa_dx10_clamp 1
		.amdhsa_ieee_mode 1
		.amdhsa_fp16_overflow 0
		.amdhsa_workgroup_processor_mode 1
		.amdhsa_memory_ordered 1
		.amdhsa_forward_progress 0
		.amdhsa_shared_vgpr_count 0
		.amdhsa_exception_fp_ieee_invalid_op 0
		.amdhsa_exception_fp_denorm_src 0
		.amdhsa_exception_fp_ieee_div_zero 0
		.amdhsa_exception_fp_ieee_overflow 0
		.amdhsa_exception_fp_ieee_underflow 0
		.amdhsa_exception_fp_ieee_inexact 0
		.amdhsa_exception_int_div_zero 0
	.end_amdhsa_kernel
	.section	.text._Z30fast_hadamard_transform_kernelI37fast_hadamard_transform_kernel_traitsILi32ELi9E6__halfEEv18HadamardParamsBase,"axG",@progbits,_Z30fast_hadamard_transform_kernelI37fast_hadamard_transform_kernel_traitsILi32ELi9E6__halfEEv18HadamardParamsBase,comdat
.Lfunc_end19:
	.size	_Z30fast_hadamard_transform_kernelI37fast_hadamard_transform_kernel_traitsILi32ELi9E6__halfEEv18HadamardParamsBase, .Lfunc_end19-_Z30fast_hadamard_transform_kernelI37fast_hadamard_transform_kernel_traitsILi32ELi9E6__halfEEv18HadamardParamsBase
                                        ; -- End function
	.section	.AMDGPU.csdata,"",@progbits
; Kernel info:
; codeLenInByte = 2904
; NumSgprs: 18
; NumVgprs: 38
; ScratchSize: 0
; MemoryBound: 0
; FloatMode: 240
; IeeeMode: 1
; LDSByteSize: 0 bytes/workgroup (compile time only)
; SGPRBlocks: 2
; VGPRBlocks: 4
; NumSGPRsForWavesPerEU: 18
; NumVGPRsForWavesPerEU: 38
; Occupancy: 16
; WaveLimiterHint : 0
; COMPUTE_PGM_RSRC2:SCRATCH_EN: 0
; COMPUTE_PGM_RSRC2:USER_SGPR: 15
; COMPUTE_PGM_RSRC2:TRAP_HANDLER: 0
; COMPUTE_PGM_RSRC2:TGID_X_EN: 1
; COMPUTE_PGM_RSRC2:TGID_Y_EN: 0
; COMPUTE_PGM_RSRC2:TGID_Z_EN: 0
; COMPUTE_PGM_RSRC2:TIDIG_COMP_CNT: 0
	.section	.text._Z30fast_hadamard_transform_kernelI37fast_hadamard_transform_kernel_traitsILi128ELi10E6__halfEEv18HadamardParamsBase,"axG",@progbits,_Z30fast_hadamard_transform_kernelI37fast_hadamard_transform_kernel_traitsILi128ELi10E6__halfEEv18HadamardParamsBase,comdat
	.protected	_Z30fast_hadamard_transform_kernelI37fast_hadamard_transform_kernel_traitsILi128ELi10E6__halfEEv18HadamardParamsBase ; -- Begin function _Z30fast_hadamard_transform_kernelI37fast_hadamard_transform_kernel_traitsILi128ELi10E6__halfEEv18HadamardParamsBase
	.globl	_Z30fast_hadamard_transform_kernelI37fast_hadamard_transform_kernel_traitsILi128ELi10E6__halfEEv18HadamardParamsBase
	.p2align	8
	.type	_Z30fast_hadamard_transform_kernelI37fast_hadamard_transform_kernel_traitsILi128ELi10E6__halfEEv18HadamardParamsBase,@function
_Z30fast_hadamard_transform_kernelI37fast_hadamard_transform_kernel_traitsILi128ELi10E6__halfEEv18HadamardParamsBase: ; @_Z30fast_hadamard_transform_kernelI37fast_hadamard_transform_kernel_traitsILi128ELi10E6__halfEEv18HadamardParamsBase
; %bb.0:
	s_load_b32 s2, s[0:1], 0x4
	v_dual_mov_b32 v4, 0 :: v_dual_lshlrev_b32 v9, 3, v0
	v_dual_mov_b32 v2, 0 :: v_dual_mov_b32 v5, 0
	v_dual_mov_b32 v3, 0 :: v_dual_mov_b32 v6, 0
	;; [unrolled: 1-line block ×3, first 2 shown]
	v_lshlrev_b32_e32 v1, 4, v0
	s_ashr_i32 s6, s15, 31
	s_waitcnt lgkmcnt(0)
	v_cmp_gt_u32_e32 vcc_lo, s2, v9
	v_mov_b32_e32 v9, 0
	s_and_saveexec_b32 s2, vcc_lo
	s_cbranch_execz .LBB20_2
; %bb.1:
	s_clause 0x1
	s_load_b64 s[4:5], s[0:1], 0x10
	s_load_b64 s[8:9], s[0:1], 0x28
	s_waitcnt lgkmcnt(0)
	s_mul_i32 s3, s4, s6
	s_mul_hi_u32 s7, s4, s15
	s_mul_i32 s5, s5, s15
	s_add_i32 s3, s7, s3
	s_mul_i32 s4, s4, s15
	s_add_i32 s5, s3, s5
	s_delay_alu instid0(SALU_CYCLE_1) | instskip(NEXT) | instid1(SALU_CYCLE_1)
	s_lshl_b64 s[4:5], s[4:5], 1
	s_add_u32 s4, s8, s4
	s_addc_u32 s5, s9, s5
	global_load_b128 v[4:7], v1, s[4:5]
	s_waitcnt vmcnt(0)
	v_cvt_f32_f16_e32 v8, v4
	v_lshrrev_b32_e32 v9, 16, v4
	v_cvt_f32_f16_e32 v4, v5
	v_lshrrev_b32_e32 v5, 16, v5
	;; [unrolled: 2-line block ×3, first 2 shown]
	v_lshrrev_b32_e32 v10, 16, v7
	v_cvt_f32_f16_e32 v2, v7
	v_cvt_f32_f16_e32 v9, v9
	;; [unrolled: 1-line block ×5, first 2 shown]
.LBB20_2:
	s_or_b32 exec_lo, exec_lo, s2
	v_mbcnt_lo_u32_b32 v11, -1, 0
	v_add_f32_e32 v10, v9, v8
	v_dual_sub_f32 v8, v8, v9 :: v_dual_add_f32 v9, v7, v4
	v_sub_f32_e32 v4, v4, v7
	s_delay_alu instid0(VALU_DEP_4) | instskip(SKIP_2) | instid1(VALU_DEP_4)
	v_xor_b32_e32 v12, 1, v11
	v_add_f32_e32 v7, v6, v3
	v_sub_f32_e32 v3, v3, v6
	v_dual_add_f32 v6, v5, v2 :: v_dual_add_f32 v13, v4, v8
	v_dual_sub_f32 v2, v2, v5 :: v_dual_add_f32 v5, v9, v10
	v_cmp_gt_i32_e64 s2, 32, v12
	v_dual_sub_f32 v9, v10, v9 :: v_dual_sub_f32 v4, v8, v4
	v_xor_b32_e32 v20, 2, v11
	v_xor_b32_e32 v22, 4, v11
	s_delay_alu instid0(VALU_DEP_4) | instskip(SKIP_1) | instid1(VALU_DEP_4)
	v_cndmask_b32_e64 v12, v11, v12, s2
	v_dual_add_f32 v15, v2, v3 :: v_dual_sub_f32 v2, v3, v2
	v_cmp_gt_i32_e64 s3, 32, v20
	s_delay_alu instid0(VALU_DEP_4) | instskip(NEXT) | instid1(VALU_DEP_4)
	v_cmp_gt_i32_e64 s4, 32, v22
	v_lshlrev_b32_e32 v12, 2, v12
	s_delay_alu instid0(VALU_DEP_4)
	v_dual_add_f32 v16, v15, v13 :: v_dual_add_f32 v17, v2, v4
	v_sub_f32_e32 v13, v13, v15
	s_barrier
	buffer_gl0_inv
	ds_bpermute_b32 v18, v12, v17
	v_add_f32_e32 v14, v6, v7
	v_sub_f32_e32 v6, v7, v6
	ds_bpermute_b32 v7, v12, v16
	v_dual_add_f32 v10, v14, v5 :: v_dual_sub_f32 v5, v5, v14
	v_and_b32_e32 v14, 1, v0
	ds_bpermute_b32 v3, v12, v10
	ds_bpermute_b32 v19, v12, v5
	v_cmp_eq_u32_e64 s2, 0, v14
	ds_bpermute_b32 v14, v12, v13
	v_cndmask_b32_e64 v5, -v5, v5, s2
	v_add_f32_e32 v8, v6, v9
	v_sub_f32_e32 v6, v9, v6
	v_cndmask_b32_e64 v9, -v10, v10, s2
	v_cndmask_b32_e64 v10, -v16, v16, s2
	;; [unrolled: 1-line block ×3, first 2 shown]
	s_waitcnt lgkmcnt(3)
	s_delay_alu instid0(VALU_DEP_2)
	v_add_f32_e32 v7, v10, v7
	s_waitcnt lgkmcnt(2)
	v_dual_add_f32 v3, v9, v3 :: v_dual_sub_f32 v2, v4, v2
	v_cndmask_b32_e64 v4, v11, v20, s3
	v_cndmask_b32_e64 v9, -v17, v17, s2
	s_waitcnt lgkmcnt(0)
	v_add_f32_e32 v13, v13, v14
	v_add_f32_e32 v5, v5, v19
	ds_bpermute_b32 v15, v12, v8
	v_dual_add_f32 v9, v9, v18 :: v_dual_lshlrev_b32 v10, 2, v4
	v_cndmask_b32_e64 v8, -v8, v8, s2
	ds_bpermute_b32 v17, v10, v3
	ds_bpermute_b32 v19, v10, v9
	v_and_b32_e32 v14, 2, v0
	ds_bpermute_b32 v20, v10, v5
	ds_bpermute_b32 v21, v10, v13
	v_cmp_eq_u32_e64 s3, 0, v14
	s_delay_alu instid0(VALU_DEP_1)
	v_cndmask_b32_e64 v3, -v3, v3, s3
	v_cndmask_b32_e64 v5, -v5, v5, s3
	s_waitcnt lgkmcnt(4)
	v_add_f32_e32 v8, v8, v15
	ds_bpermute_b32 v15, v10, v7
	v_cndmask_b32_e64 v9, -v9, v9, s3
	v_cndmask_b32_e64 v13, -v13, v13, s3
	;; [unrolled: 1-line block ×3, first 2 shown]
	s_waitcnt lgkmcnt(4)
	v_add_f32_e32 v3, v3, v17
	ds_bpermute_b32 v4, v12, v6
	v_cndmask_b32_e64 v6, -v6, v6, s2
	s_waitcnt lgkmcnt(3)
	v_add_f32_e32 v5, v5, v20
	ds_bpermute_b32 v18, v10, v8
	v_add_f32_e32 v9, v9, v19
	v_cndmask_b32_e64 v8, -v8, v8, s3
	s_waitcnt lgkmcnt(3)
	v_add_f32_e32 v13, v13, v21
	s_waitcnt lgkmcnt(2)
	v_add_f32_e32 v7, v7, v15
	v_and_b32_e32 v15, 4, v0
	ds_bpermute_b32 v16, v12, v2
	v_cndmask_b32_e64 v2, -v2, v2, s2
	s_waitcnt lgkmcnt(2)
	v_add_f32_e32 v4, v6, v4
	v_cndmask_b32_e64 v6, v11, v22, s4
	v_cmp_eq_u32_e64 s4, 0, v15
	s_waitcnt lgkmcnt(1)
	v_add_f32_e32 v8, v8, v18
	v_xor_b32_e32 v22, 8, v11
	ds_bpermute_b32 v14, v10, v4
	v_lshlrev_b32_e32 v6, 2, v6
	v_cndmask_b32_e64 v4, -v4, v4, s3
	v_cmp_gt_i32_e64 s5, 32, v22
	ds_bpermute_b32 v20, v6, v9
	v_cndmask_b32_e64 v9, -v9, v9, s4
	s_waitcnt lgkmcnt(0)
	s_delay_alu instid0(VALU_DEP_1)
	v_add_f32_e32 v9, v9, v20
	ds_bpermute_b32 v17, v6, v3
	v_cndmask_b32_e64 v3, -v3, v3, s4
	v_add_f32_e32 v2, v2, v16
	ds_bpermute_b32 v18, v6, v7
	ds_bpermute_b32 v21, v6, v5
	;; [unrolled: 1-line block ×3, first 2 shown]
	v_cndmask_b32_e64 v7, -v7, v7, s4
	v_cndmask_b32_e64 v5, -v5, v5, s4
	v_add_f32_e32 v4, v4, v14
	ds_bpermute_b32 v19, v6, v8
	v_cndmask_b32_e64 v14, v11, v22, s5
	v_cndmask_b32_e64 v13, -v13, v13, s4
	v_cndmask_b32_e64 v8, -v8, v8, s4
	s_waitcnt lgkmcnt(4)
	s_delay_alu instid0(VALU_DEP_3)
	v_dual_add_f32 v3, v3, v17 :: v_dual_lshlrev_b32 v14, 2, v14
	ds_bpermute_b32 v16, v10, v2
	v_cndmask_b32_e64 v2, -v2, v2, s3
	s_waitcnt lgkmcnt(4)
	v_add_f32_e32 v7, v7, v18
	s_waitcnt lgkmcnt(3)
	v_add_f32_e32 v5, v5, v21
	;; [unrolled: 2-line block ×3, first 2 shown]
	ds_bpermute_b32 v17, v14, v3
	ds_bpermute_b32 v21, v14, v5
	v_and_b32_e32 v18, 8, v0
	ds_bpermute_b32 v15, v14, v13
	s_waitcnt lgkmcnt(3)
	v_add_f32_e32 v2, v2, v16
	ds_bpermute_b32 v16, v6, v4
	v_cndmask_b32_e64 v4, -v4, v4, s4
	ds_bpermute_b32 v6, v6, v2
	v_cndmask_b32_e64 v2, -v2, v2, s4
	v_cmp_eq_u32_e64 s4, 0, v18
	ds_bpermute_b32 v18, v14, v9
	v_cndmask_b32_e64 v3, -v3, v3, s4
	v_add_f32_e32 v8, v8, v19
	ds_bpermute_b32 v19, v14, v7
	v_cndmask_b32_e64 v5, -v5, v5, s4
	v_cndmask_b32_e64 v9, -v9, v9, s4
	s_waitcnt lgkmcnt(6)
	v_add_f32_e32 v3, v3, v17
	ds_bpermute_b32 v20, v14, v8
	v_cndmask_b32_e64 v8, -v8, v8, s4
	s_waitcnt lgkmcnt(6)
	v_add_f32_e32 v5, v5, v21
	s_waitcnt lgkmcnt(3)
	v_dual_add_f32 v2, v2, v6 :: v_dual_and_b32 v21, 16, v0
	v_cndmask_b32_e64 v6, -v7, v7, s4
	v_xor_b32_e32 v7, 16, v11
	s_waitcnt lgkmcnt(2)
	v_add_f32_e32 v9, v9, v18
	s_delay_alu instid0(VALU_DEP_2) | instskip(SKIP_2) | instid1(VALU_DEP_2)
	v_cmp_gt_i32_e64 s5, 32, v7
	s_waitcnt lgkmcnt(1)
	v_add_f32_e32 v6, v6, v19
	v_cndmask_b32_e64 v7, v11, v7, s5
	v_add_f32_e32 v4, v4, v16
	v_cndmask_b32_e64 v11, -v13, v13, s4
	s_waitcnt lgkmcnt(0)
	s_delay_alu instid0(VALU_DEP_3)
	v_dual_add_f32 v8, v8, v20 :: v_dual_lshlrev_b32 v7, 2, v7
	ds_bpermute_b32 v16, v14, v4
	v_add_f32_e32 v11, v11, v15
	ds_bpermute_b32 v14, v14, v2
	v_cndmask_b32_e64 v4, -v4, v4, s4
	ds_bpermute_b32 v13, v7, v3
	ds_bpermute_b32 v19, v7, v9
	;; [unrolled: 1-line block ×3, first 2 shown]
	v_cndmask_b32_e64 v2, -v2, v2, s4
	v_cmp_eq_u32_e64 s4, 0, v21
	ds_bpermute_b32 v17, v7, v6
	ds_bpermute_b32 v18, v7, v8
	s_waitcnt lgkmcnt(6)
	v_add_f32_e32 v15, v4, v16
	ds_bpermute_b32 v16, v7, v11
	s_waitcnt lgkmcnt(6)
	v_add_f32_e32 v14, v2, v14
	v_cndmask_b32_e64 v2, -v3, v3, s4
	v_cndmask_b32_e64 v3, -v6, v6, s4
	ds_bpermute_b32 v21, v7, v15
	v_cndmask_b32_e64 v6, -v9, v9, s4
	ds_bpermute_b32 v22, v7, v14
	v_cndmask_b32_e64 v7, -v5, v5, s4
	s_waitcnt lgkmcnt(7)
	v_dual_add_f32 v2, v2, v13 :: v_dual_and_b32 v13, 3, v0
	s_waitcnt lgkmcnt(6)
	v_add_f32_e32 v5, v6, v19
	v_cndmask_b32_e64 v4, -v8, v8, s4
	s_waitcnt lgkmcnt(5)
	v_add_f32_e32 v6, v7, v20
	v_lshrrev_b32_e32 v7, 2, v0
	v_lshrrev_b32_e32 v8, 5, v0
	v_cndmask_b32_e64 v9, -v11, v11, s4
	v_cndmask_b32_e64 v11, -v15, v15, s4
	;; [unrolled: 1-line block ×3, first 2 shown]
	v_lshl_or_b32 v15, v13, 5, v7
	v_xor_b32_e32 v0, v8, v0
	s_waitcnt lgkmcnt(2)
	v_add_f32_e32 v7, v9, v16
	v_dual_add_f32 v3, v3, v17 :: v_dual_add_f32 v4, v4, v18
	s_waitcnt lgkmcnt(1)
	v_add_f32_e32 v8, v11, v21
	v_xor_b32_e32 v11, v15, v13
	v_lshl_add_u32 v0, v0, 4, 0
	s_waitcnt lgkmcnt(0)
	v_add_f32_e32 v9, v14, v22
	ds_store_b128 v0, v[2:5]
	ds_store_b128 v0, v[6:9] offset:2048
	v_lshl_add_u32 v11, v11, 4, 0
	s_waitcnt lgkmcnt(0)
	s_barrier
	buffer_gl0_inv
	ds_load_b128 v[2:5], v11
	ds_load_b128 v[6:9], v11 offset:2048
	s_waitcnt lgkmcnt(0)
	s_barrier
	buffer_gl0_inv
	ds_bpermute_b32 v13, v12, v2
	ds_bpermute_b32 v14, v12, v3
	v_cndmask_b32_e64 v2, -v2, v2, s2
	ds_bpermute_b32 v15, v12, v4
	ds_bpermute_b32 v16, v12, v5
	;; [unrolled: 1-line block ×6, first 2 shown]
	v_cndmask_b32_e64 v3, -v3, v3, s2
	v_cndmask_b32_e64 v4, -v4, v4, s2
	;; [unrolled: 1-line block ×7, first 2 shown]
	s_waitcnt lgkmcnt(6)
	v_dual_add_f32 v2, v2, v13 :: v_dual_add_f32 v3, v3, v14
	s_waitcnt lgkmcnt(4)
	v_dual_add_f32 v4, v4, v15 :: v_dual_add_f32 v5, v5, v16
	s_waitcnt lgkmcnt(3)
	v_add_f32_e32 v6, v6, v17
	ds_bpermute_b32 v13, v10, v2
	s_waitcnt lgkmcnt(2)
	v_dual_add_f32 v7, v7, v18 :: v_dual_add_f32 v8, v8, v19
	v_cndmask_b32_e64 v2, -v2, v2, s3
	s_waitcnt lgkmcnt(1)
	v_add_f32_e32 v9, v9, v12
	ds_bpermute_b32 v14, v10, v3
	ds_bpermute_b32 v15, v10, v4
	;; [unrolled: 1-line block ×6, first 2 shown]
	v_cndmask_b32_e64 v3, -v3, v3, s3
	v_cndmask_b32_e64 v4, -v4, v4, s3
	v_cndmask_b32_e64 v5, -v5, v5, s3
	v_cndmask_b32_e64 v6, -v6, v6, s3
	v_cndmask_b32_e64 v7, -v7, v7, s3
	v_cndmask_b32_e64 v8, -v8, v8, s3
	s_waitcnt lgkmcnt(6)
	v_add_f32_e32 v2, v2, v13
	ds_bpermute_b32 v10, v10, v9
	v_cndmask_b32_e64 v9, -v9, v9, s3
	s_waitcnt lgkmcnt(5)
	v_dual_add_f32 v3, v3, v14 :: v_dual_add_f32 v4, v4, v15
	s_waitcnt lgkmcnt(4)
	v_add_f32_e32 v5, v5, v12
	s_waitcnt lgkmcnt(2)
	v_dual_add_f32 v6, v6, v16 :: v_dual_add_f32 v7, v7, v17
	s_waitcnt lgkmcnt(1)
	v_add_f32_e32 v8, v8, v18
	s_waitcnt lgkmcnt(0)
	v_add_f32_e32 v9, v9, v10
	ds_store_b128 v11, v[2:5]
	ds_store_b128 v11, v[6:9] offset:2048
	s_waitcnt lgkmcnt(0)
	s_barrier
	buffer_gl0_inv
	s_and_saveexec_b32 s2, vcc_lo
	s_cbranch_execz .LBB20_4
; %bb.3:
	s_clause 0x1
	s_load_b64 s[2:3], s[0:1], 0x18
	s_load_b32 s4, s[0:1], 0x20
	ds_load_b128 v[2:5], v0 offset:2048
	ds_load_b128 v[6:9], v0
	s_load_b64 s[0:1], s[0:1], 0x30
	s_waitcnt lgkmcnt(0)
	s_mul_i32 s5, s2, s6
	s_mul_hi_u32 s6, s2, s15
	v_fma_mixlo_f16 v13, s4, v4, 0
	v_fma_mixlo_f16 v12, s4, v2, 0
	;; [unrolled: 1-line block ×4, first 2 shown]
	s_mul_i32 s3, s3, s15
	s_add_i32 s5, s6, s5
	s_mul_i32 s2, s2, s15
	s_add_i32 s3, s5, s3
	v_fma_mixhi_f16 v13, s4, v5, 0
	v_fma_mixhi_f16 v12, s4, v3, 0
	;; [unrolled: 1-line block ×3, first 2 shown]
	s_lshl_b64 s[2:3], s[2:3], 1
	v_fma_mixhi_f16 v10, s4, v7, 0
	s_add_u32 s0, s0, s2
	s_addc_u32 s1, s1, s3
	global_store_b128 v1, v[10:13], s[0:1]
.LBB20_4:
	s_nop 0
	s_sendmsg sendmsg(MSG_DEALLOC_VGPRS)
	s_endpgm
	.section	.rodata,"a",@progbits
	.p2align	6, 0x0
	.amdhsa_kernel _Z30fast_hadamard_transform_kernelI37fast_hadamard_transform_kernel_traitsILi128ELi10E6__halfEEv18HadamardParamsBase
		.amdhsa_group_segment_fixed_size 0
		.amdhsa_private_segment_fixed_size 0
		.amdhsa_kernarg_size 56
		.amdhsa_user_sgpr_count 15
		.amdhsa_user_sgpr_dispatch_ptr 0
		.amdhsa_user_sgpr_queue_ptr 0
		.amdhsa_user_sgpr_kernarg_segment_ptr 1
		.amdhsa_user_sgpr_dispatch_id 0
		.amdhsa_user_sgpr_private_segment_size 0
		.amdhsa_wavefront_size32 1
		.amdhsa_uses_dynamic_stack 0
		.amdhsa_enable_private_segment 0
		.amdhsa_system_sgpr_workgroup_id_x 1
		.amdhsa_system_sgpr_workgroup_id_y 0
		.amdhsa_system_sgpr_workgroup_id_z 0
		.amdhsa_system_sgpr_workgroup_info 0
		.amdhsa_system_vgpr_workitem_id 0
		.amdhsa_next_free_vgpr 23
		.amdhsa_next_free_sgpr 16
		.amdhsa_reserve_vcc 1
		.amdhsa_float_round_mode_32 0
		.amdhsa_float_round_mode_16_64 0
		.amdhsa_float_denorm_mode_32 3
		.amdhsa_float_denorm_mode_16_64 3
		.amdhsa_dx10_clamp 1
		.amdhsa_ieee_mode 1
		.amdhsa_fp16_overflow 0
		.amdhsa_workgroup_processor_mode 1
		.amdhsa_memory_ordered 1
		.amdhsa_forward_progress 0
		.amdhsa_shared_vgpr_count 0
		.amdhsa_exception_fp_ieee_invalid_op 0
		.amdhsa_exception_fp_denorm_src 0
		.amdhsa_exception_fp_ieee_div_zero 0
		.amdhsa_exception_fp_ieee_overflow 0
		.amdhsa_exception_fp_ieee_underflow 0
		.amdhsa_exception_fp_ieee_inexact 0
		.amdhsa_exception_int_div_zero 0
	.end_amdhsa_kernel
	.section	.text._Z30fast_hadamard_transform_kernelI37fast_hadamard_transform_kernel_traitsILi128ELi10E6__halfEEv18HadamardParamsBase,"axG",@progbits,_Z30fast_hadamard_transform_kernelI37fast_hadamard_transform_kernel_traitsILi128ELi10E6__halfEEv18HadamardParamsBase,comdat
.Lfunc_end20:
	.size	_Z30fast_hadamard_transform_kernelI37fast_hadamard_transform_kernel_traitsILi128ELi10E6__halfEEv18HadamardParamsBase, .Lfunc_end20-_Z30fast_hadamard_transform_kernelI37fast_hadamard_transform_kernel_traitsILi128ELi10E6__halfEEv18HadamardParamsBase
                                        ; -- End function
	.section	.AMDGPU.csdata,"",@progbits
; Kernel info:
; codeLenInByte = 2132
; NumSgprs: 18
; NumVgprs: 23
; ScratchSize: 0
; MemoryBound: 0
; FloatMode: 240
; IeeeMode: 1
; LDSByteSize: 0 bytes/workgroup (compile time only)
; SGPRBlocks: 2
; VGPRBlocks: 2
; NumSGPRsForWavesPerEU: 18
; NumVGPRsForWavesPerEU: 23
; Occupancy: 16
; WaveLimiterHint : 0
; COMPUTE_PGM_RSRC2:SCRATCH_EN: 0
; COMPUTE_PGM_RSRC2:USER_SGPR: 15
; COMPUTE_PGM_RSRC2:TRAP_HANDLER: 0
; COMPUTE_PGM_RSRC2:TGID_X_EN: 1
; COMPUTE_PGM_RSRC2:TGID_Y_EN: 0
; COMPUTE_PGM_RSRC2:TGID_Z_EN: 0
; COMPUTE_PGM_RSRC2:TIDIG_COMP_CNT: 0
	.section	.text._Z30fast_hadamard_transform_kernelI37fast_hadamard_transform_kernel_traitsILi256ELi11E6__halfEEv18HadamardParamsBase,"axG",@progbits,_Z30fast_hadamard_transform_kernelI37fast_hadamard_transform_kernel_traitsILi256ELi11E6__halfEEv18HadamardParamsBase,comdat
	.protected	_Z30fast_hadamard_transform_kernelI37fast_hadamard_transform_kernel_traitsILi256ELi11E6__halfEEv18HadamardParamsBase ; -- Begin function _Z30fast_hadamard_transform_kernelI37fast_hadamard_transform_kernel_traitsILi256ELi11E6__halfEEv18HadamardParamsBase
	.globl	_Z30fast_hadamard_transform_kernelI37fast_hadamard_transform_kernel_traitsILi256ELi11E6__halfEEv18HadamardParamsBase
	.p2align	8
	.type	_Z30fast_hadamard_transform_kernelI37fast_hadamard_transform_kernel_traitsILi256ELi11E6__halfEEv18HadamardParamsBase,@function
_Z30fast_hadamard_transform_kernelI37fast_hadamard_transform_kernel_traitsILi256ELi11E6__halfEEv18HadamardParamsBase: ; @_Z30fast_hadamard_transform_kernelI37fast_hadamard_transform_kernel_traitsILi256ELi11E6__halfEEv18HadamardParamsBase
; %bb.0:
	s_load_b32 s2, s[0:1], 0x4
	v_dual_mov_b32 v4, 0 :: v_dual_lshlrev_b32 v9, 3, v0
	v_dual_mov_b32 v2, 0 :: v_dual_mov_b32 v5, 0
	v_dual_mov_b32 v3, 0 :: v_dual_mov_b32 v6, 0
	;; [unrolled: 1-line block ×3, first 2 shown]
	v_lshlrev_b32_e32 v1, 4, v0
	s_ashr_i32 s7, s15, 31
	s_waitcnt lgkmcnt(0)
	v_cmp_gt_u32_e32 vcc_lo, s2, v9
	v_mov_b32_e32 v9, 0
	s_and_saveexec_b32 s2, vcc_lo
	s_cbranch_execz .LBB21_2
; %bb.1:
	s_clause 0x1
	s_load_b64 s[4:5], s[0:1], 0x10
	s_load_b64 s[8:9], s[0:1], 0x28
	s_waitcnt lgkmcnt(0)
	s_mul_i32 s3, s4, s7
	s_mul_hi_u32 s6, s4, s15
	s_mul_i32 s5, s5, s15
	s_add_i32 s3, s6, s3
	s_mul_i32 s4, s4, s15
	s_add_i32 s5, s3, s5
	s_delay_alu instid0(SALU_CYCLE_1) | instskip(NEXT) | instid1(SALU_CYCLE_1)
	s_lshl_b64 s[4:5], s[4:5], 1
	s_add_u32 s4, s8, s4
	s_addc_u32 s5, s9, s5
	global_load_b128 v[4:7], v1, s[4:5]
	s_waitcnt vmcnt(0)
	v_cvt_f32_f16_e32 v8, v4
	v_lshrrev_b32_e32 v9, 16, v4
	v_cvt_f32_f16_e32 v4, v5
	v_lshrrev_b32_e32 v5, 16, v5
	;; [unrolled: 2-line block ×3, first 2 shown]
	v_lshrrev_b32_e32 v10, 16, v7
	v_cvt_f32_f16_e32 v2, v7
	v_cvt_f32_f16_e32 v9, v9
	;; [unrolled: 1-line block ×5, first 2 shown]
.LBB21_2:
	s_or_b32 exec_lo, exec_lo, s2
	v_mbcnt_lo_u32_b32 v11, -1, 0
	v_add_f32_e32 v10, v9, v8
	v_dual_sub_f32 v8, v8, v9 :: v_dual_add_f32 v9, v7, v4
	v_sub_f32_e32 v4, v4, v7
	s_delay_alu instid0(VALU_DEP_4) | instskip(SKIP_2) | instid1(VALU_DEP_4)
	v_xor_b32_e32 v12, 1, v11
	v_add_f32_e32 v7, v6, v3
	v_sub_f32_e32 v3, v3, v6
	v_dual_add_f32 v6, v5, v2 :: v_dual_add_f32 v13, v4, v8
	v_dual_sub_f32 v2, v2, v5 :: v_dual_add_f32 v5, v9, v10
	v_cmp_gt_i32_e64 s2, 32, v12
	v_dual_sub_f32 v9, v10, v9 :: v_dual_sub_f32 v4, v8, v4
	v_xor_b32_e32 v20, 2, v11
	v_xor_b32_e32 v22, 4, v11
	s_delay_alu instid0(VALU_DEP_4) | instskip(SKIP_1) | instid1(VALU_DEP_4)
	v_cndmask_b32_e64 v12, v11, v12, s2
	v_dual_add_f32 v15, v2, v3 :: v_dual_sub_f32 v2, v3, v2
	v_cmp_gt_i32_e64 s3, 32, v20
	s_delay_alu instid0(VALU_DEP_4) | instskip(NEXT) | instid1(VALU_DEP_4)
	v_cmp_gt_i32_e64 s4, 32, v22
	v_lshlrev_b32_e32 v12, 2, v12
	s_delay_alu instid0(VALU_DEP_4)
	v_dual_add_f32 v16, v15, v13 :: v_dual_add_f32 v17, v2, v4
	v_sub_f32_e32 v13, v13, v15
	s_barrier
	buffer_gl0_inv
	ds_bpermute_b32 v18, v12, v17
	v_add_f32_e32 v14, v6, v7
	v_sub_f32_e32 v6, v7, v6
	ds_bpermute_b32 v7, v12, v16
	v_dual_add_f32 v10, v14, v5 :: v_dual_sub_f32 v5, v5, v14
	v_and_b32_e32 v14, 1, v0
	ds_bpermute_b32 v3, v12, v10
	ds_bpermute_b32 v19, v12, v5
	v_cmp_eq_u32_e64 s2, 0, v14
	ds_bpermute_b32 v14, v12, v13
	v_cndmask_b32_e64 v5, -v5, v5, s2
	v_add_f32_e32 v8, v6, v9
	v_sub_f32_e32 v6, v9, v6
	v_cndmask_b32_e64 v9, -v10, v10, s2
	v_cndmask_b32_e64 v10, -v16, v16, s2
	;; [unrolled: 1-line block ×3, first 2 shown]
	s_waitcnt lgkmcnt(3)
	s_delay_alu instid0(VALU_DEP_2)
	v_add_f32_e32 v7, v10, v7
	s_waitcnt lgkmcnt(2)
	v_dual_add_f32 v3, v9, v3 :: v_dual_sub_f32 v2, v4, v2
	v_cndmask_b32_e64 v4, v11, v20, s3
	v_cndmask_b32_e64 v9, -v17, v17, s2
	s_waitcnt lgkmcnt(0)
	v_add_f32_e32 v13, v13, v14
	v_add_f32_e32 v5, v5, v19
	ds_bpermute_b32 v15, v12, v8
	v_dual_add_f32 v9, v9, v18 :: v_dual_lshlrev_b32 v10, 2, v4
	v_cndmask_b32_e64 v8, -v8, v8, s2
	ds_bpermute_b32 v17, v10, v3
	ds_bpermute_b32 v19, v10, v9
	v_and_b32_e32 v14, 2, v0
	ds_bpermute_b32 v20, v10, v5
	ds_bpermute_b32 v21, v10, v13
	v_cmp_eq_u32_e64 s3, 0, v14
	s_delay_alu instid0(VALU_DEP_1)
	v_cndmask_b32_e64 v3, -v3, v3, s3
	v_cndmask_b32_e64 v5, -v5, v5, s3
	s_waitcnt lgkmcnt(4)
	v_add_f32_e32 v8, v8, v15
	ds_bpermute_b32 v15, v10, v7
	v_cndmask_b32_e64 v9, -v9, v9, s3
	v_cndmask_b32_e64 v13, -v13, v13, s3
	;; [unrolled: 1-line block ×3, first 2 shown]
	s_waitcnt lgkmcnt(4)
	v_add_f32_e32 v3, v3, v17
	ds_bpermute_b32 v4, v12, v6
	v_cndmask_b32_e64 v6, -v6, v6, s2
	s_waitcnt lgkmcnt(3)
	v_add_f32_e32 v5, v5, v20
	ds_bpermute_b32 v18, v10, v8
	v_add_f32_e32 v9, v9, v19
	v_cndmask_b32_e64 v8, -v8, v8, s3
	s_waitcnt lgkmcnt(3)
	v_add_f32_e32 v13, v13, v21
	s_waitcnt lgkmcnt(2)
	v_add_f32_e32 v7, v7, v15
	v_and_b32_e32 v15, 4, v0
	ds_bpermute_b32 v16, v12, v2
	v_cndmask_b32_e64 v2, -v2, v2, s2
	s_waitcnt lgkmcnt(2)
	v_add_f32_e32 v4, v6, v4
	v_cndmask_b32_e64 v6, v11, v22, s4
	v_cmp_eq_u32_e64 s4, 0, v15
	s_waitcnt lgkmcnt(1)
	v_add_f32_e32 v8, v8, v18
	v_xor_b32_e32 v22, 8, v11
	v_lshlrev_b32_e32 v14, 2, v6
	ds_bpermute_b32 v6, v10, v4
	v_cndmask_b32_e64 v4, -v4, v4, s3
	v_cmp_gt_i32_e64 s5, 32, v22
	ds_bpermute_b32 v20, v14, v9
	v_cndmask_b32_e64 v9, -v9, v9, s4
	s_waitcnt lgkmcnt(0)
	s_delay_alu instid0(VALU_DEP_1)
	v_add_f32_e32 v9, v9, v20
	ds_bpermute_b32 v17, v14, v3
	v_cndmask_b32_e64 v3, -v3, v3, s4
	v_add_f32_e32 v2, v2, v16
	ds_bpermute_b32 v15, v14, v13
	ds_bpermute_b32 v18, v14, v7
	;; [unrolled: 1-line block ×3, first 2 shown]
	v_cndmask_b32_e64 v5, -v5, v5, s4
	v_add_f32_e32 v4, v4, v6
	v_cndmask_b32_e64 v6, v11, v22, s5
	ds_bpermute_b32 v19, v14, v8
	v_cndmask_b32_e64 v13, -v13, v13, s4
	v_cndmask_b32_e64 v7, -v7, v7, s4
	;; [unrolled: 1-line block ×3, first 2 shown]
	s_waitcnt lgkmcnt(4)
	v_dual_add_f32 v3, v3, v17 :: v_dual_lshlrev_b32 v6, 2, v6
	ds_bpermute_b32 v16, v10, v2
	v_cndmask_b32_e64 v2, -v2, v2, s3
	s_waitcnt lgkmcnt(4)
	v_add_f32_e32 v13, v13, v15
	v_xor_b32_e32 v15, 16, v11
	ds_bpermute_b32 v22, v6, v3
	s_waitcnt lgkmcnt(3)
	v_add_f32_e32 v5, v5, v21
	v_dual_add_f32 v7, v7, v18 :: v_dual_and_b32 v18, 8, v0
	v_cmp_gt_i32_e64 s6, 32, v15
	ds_bpermute_b32 v21, v6, v5
	v_cmp_eq_u32_e64 s5, 0, v18
	ds_bpermute_b32 v18, v6, v9
	v_cndmask_b32_e64 v11, v11, v15, s6
	v_cndmask_b32_e64 v3, -v3, v3, s5
	s_waitcnt lgkmcnt(4)
	v_add_f32_e32 v8, v8, v19
	ds_bpermute_b32 v19, v6, v7
	s_waitcnt lgkmcnt(4)
	v_add_f32_e32 v2, v2, v16
	ds_bpermute_b32 v16, v14, v4
	v_cndmask_b32_e64 v4, -v4, v4, s4
	v_cndmask_b32_e64 v9, -v9, v9, s5
	s_waitcnt lgkmcnt(4)
	v_add_f32_e32 v3, v3, v22
	ds_bpermute_b32 v17, v14, v2
	v_cndmask_b32_e64 v2, -v2, v2, s4
	ds_bpermute_b32 v20, v6, v8
	v_cndmask_b32_e64 v8, -v8, v8, s5
	v_lshlrev_b32_e32 v11, 2, v11
	v_cndmask_b32_e64 v5, -v5, v5, s5
	v_cndmask_b32_e64 v7, -v7, v7, s5
	s_waitcnt lgkmcnt(4)
	v_add_f32_e32 v9, v9, v18
	ds_bpermute_b32 v15, v11, v3
	v_add_f32_e32 v5, v5, v21
	s_waitcnt lgkmcnt(4)
	v_add_f32_e32 v7, v7, v19
	ds_bpermute_b32 v21, v11, v5
	s_waitcnt lgkmcnt(4)
	v_add_f32_e32 v4, v4, v16
	ds_bpermute_b32 v16, v6, v13
	v_cndmask_b32_e64 v13, -v13, v13, s5
	ds_bpermute_b32 v18, v11, v7
	s_waitcnt lgkmcnt(5)
	v_add_f32_e32 v2, v2, v17
	ds_bpermute_b32 v17, v6, v4
	s_waitcnt lgkmcnt(5)
	v_add_f32_e32 v8, v8, v20
	v_cndmask_b32_e64 v4, -v4, v4, s5
	ds_bpermute_b32 v20, v11, v9
	ds_bpermute_b32 v6, v6, v2
	v_cndmask_b32_e64 v2, -v2, v2, s5
	ds_bpermute_b32 v19, v11, v8
	v_and_b32_e32 v22, 16, v0
	s_waitcnt lgkmcnt(3)
	v_dual_add_f32 v13, v13, v16 :: v_dual_add_f32 v16, v4, v17
	s_waitcnt lgkmcnt(1)
	v_add_f32_e32 v17, v2, v6
	v_cmp_eq_u32_e64 s5, 0, v22
	ds_bpermute_b32 v22, v11, v13
	ds_bpermute_b32 v23, v11, v16
	;; [unrolled: 1-line block ×3, first 2 shown]
	v_cndmask_b32_e64 v2, -v3, v3, s5
	v_cndmask_b32_e64 v3, -v7, v7, s5
	;; [unrolled: 1-line block ×5, first 2 shown]
	s_delay_alu instid0(VALU_DEP_4) | instskip(SKIP_1) | instid1(VALU_DEP_3)
	v_dual_add_f32 v2, v2, v15 :: v_dual_add_f32 v3, v3, v18
	s_waitcnt lgkmcnt(3)
	v_dual_add_f32 v4, v4, v19 :: v_dual_add_f32 v5, v6, v20
	s_delay_alu instid0(VALU_DEP_3)
	v_dual_add_f32 v6, v7, v21 :: v_dual_and_b32 v15, 7, v0
	v_lshrrev_b32_e32 v7, 3, v0
	v_lshrrev_b32_e32 v8, 5, v0
	v_cndmask_b32_e64 v9, -v13, v13, s5
	v_cndmask_b32_e64 v13, -v16, v16, s5
	;; [unrolled: 1-line block ×3, first 2 shown]
	v_lshl_or_b32 v17, v15, 5, v7
	v_xor_b32_e32 v0, v8, v0
	s_waitcnt lgkmcnt(2)
	v_add_f32_e32 v7, v9, v22
	s_waitcnt lgkmcnt(1)
	v_add_f32_e32 v8, v13, v23
	;; [unrolled: 2-line block ×3, first 2 shown]
	v_xor_b32_e32 v11, v17, v15
	v_lshl_add_u32 v0, v0, 4, 0
	ds_store_b128 v0, v[2:5]
	ds_store_b128 v0, v[6:9] offset:4096
	v_lshl_add_u32 v11, v11, 4, 0
	s_waitcnt lgkmcnt(0)
	s_barrier
	buffer_gl0_inv
	ds_load_b128 v[2:5], v11
	ds_load_b128 v[6:9], v11 offset:4096
	s_waitcnt lgkmcnt(0)
	s_barrier
	buffer_gl0_inv
	ds_bpermute_b32 v13, v12, v2
	ds_bpermute_b32 v18, v12, v6
	;; [unrolled: 1-line block ×3, first 2 shown]
	v_cndmask_b32_e64 v2, -v2, v2, s2
	v_cndmask_b32_e64 v6, -v6, v6, s2
	ds_bpermute_b32 v15, v12, v3
	ds_bpermute_b32 v16, v12, v4
	;; [unrolled: 1-line block ×5, first 2 shown]
	v_cndmask_b32_e64 v5, -v5, v5, s2
	v_cndmask_b32_e64 v8, -v8, v8, s2
	;; [unrolled: 1-line block ×6, first 2 shown]
	s_waitcnt lgkmcnt(7)
	v_add_f32_e32 v2, v2, v13
	s_waitcnt lgkmcnt(5)
	v_dual_add_f32 v6, v6, v18 :: v_dual_add_f32 v5, v5, v17
	ds_bpermute_b32 v13, v10, v2
	ds_bpermute_b32 v17, v10, v6
	s_waitcnt lgkmcnt(5)
	v_dual_add_f32 v3, v3, v15 :: v_dual_add_f32 v4, v4, v16
	s_waitcnt lgkmcnt(3)
	v_add_f32_e32 v8, v8, v20
	v_cndmask_b32_e64 v2, -v2, v2, s3
	v_add_f32_e32 v7, v7, v19
	v_cndmask_b32_e64 v6, -v6, v6, s3
	s_waitcnt lgkmcnt(2)
	v_add_f32_e32 v9, v9, v12
	ds_bpermute_b32 v15, v10, v3
	ds_bpermute_b32 v16, v10, v4
	;; [unrolled: 1-line block ×4, first 2 shown]
	v_cndmask_b32_e64 v3, -v3, v3, s3
	v_cndmask_b32_e64 v4, -v4, v4, s3
	;; [unrolled: 1-line block ×4, first 2 shown]
	s_waitcnt lgkmcnt(5)
	v_add_f32_e32 v2, v2, v13
	s_waitcnt lgkmcnt(4)
	v_add_f32_e32 v6, v6, v17
	ds_bpermute_b32 v18, v10, v7
	ds_bpermute_b32 v10, v10, v9
	v_cndmask_b32_e64 v7, -v7, v7, s3
	ds_bpermute_b32 v13, v14, v2
	v_cndmask_b32_e64 v9, -v9, v9, s3
	v_cndmask_b32_e64 v2, -v2, v2, s4
	s_waitcnt lgkmcnt(5)
	v_dual_add_f32 v3, v3, v15 :: v_dual_add_f32 v4, v4, v16
	s_waitcnt lgkmcnt(3)
	v_dual_add_f32 v5, v5, v12 :: v_dual_add_f32 v8, v8, v19
	ds_bpermute_b32 v12, v14, v6
	ds_bpermute_b32 v15, v14, v3
	;; [unrolled: 1-line block ×3, first 2 shown]
	v_cndmask_b32_e64 v3, -v3, v3, s4
	v_cndmask_b32_e64 v4, -v4, v4, s4
	;; [unrolled: 1-line block ×3, first 2 shown]
	s_waitcnt lgkmcnt(5)
	v_add_f32_e32 v7, v7, v18
	s_waitcnt lgkmcnt(4)
	v_add_f32_e32 v9, v9, v10
	ds_bpermute_b32 v10, v14, v5
	s_waitcnt lgkmcnt(4)
	v_add_f32_e32 v2, v2, v13
	ds_bpermute_b32 v18, v14, v8
	ds_bpermute_b32 v17, v14, v7
	;; [unrolled: 1-line block ×3, first 2 shown]
	v_cndmask_b32_e64 v5, -v5, v5, s4
	v_cndmask_b32_e64 v7, -v7, v7, s4
	;; [unrolled: 1-line block ×4, first 2 shown]
	s_waitcnt lgkmcnt(5)
	v_dual_add_f32 v6, v6, v12 :: v_dual_add_f32 v3, v3, v15
	s_waitcnt lgkmcnt(3)
	v_dual_add_f32 v4, v4, v16 :: v_dual_add_f32 v5, v5, v10
	;; [unrolled: 2-line block ×3, first 2 shown]
	s_waitcnt lgkmcnt(0)
	v_add_f32_e32 v9, v9, v14
	ds_store_b128 v11, v[2:5]
	ds_store_b128 v11, v[6:9] offset:4096
	s_waitcnt lgkmcnt(0)
	s_barrier
	buffer_gl0_inv
	s_and_saveexec_b32 s2, vcc_lo
	s_cbranch_execz .LBB21_4
; %bb.3:
	s_clause 0x1
	s_load_b64 s[2:3], s[0:1], 0x18
	s_load_b32 s4, s[0:1], 0x20
	ds_load_b128 v[2:5], v0 offset:4096
	ds_load_b128 v[6:9], v0
	s_load_b64 s[0:1], s[0:1], 0x30
	s_waitcnt lgkmcnt(0)
	s_mul_i32 s5, s2, s7
	s_mul_hi_u32 s6, s2, s15
	v_fma_mixlo_f16 v13, s4, v4, 0
	v_fma_mixlo_f16 v12, s4, v2, 0
	v_fma_mixlo_f16 v11, s4, v8, 0
	v_fma_mixlo_f16 v10, s4, v6, 0
	s_mul_i32 s3, s3, s15
	s_add_i32 s5, s6, s5
	s_mul_i32 s2, s2, s15
	s_add_i32 s3, s5, s3
	v_fma_mixhi_f16 v13, s4, v5, 0
	v_fma_mixhi_f16 v12, s4, v3, 0
	;; [unrolled: 1-line block ×3, first 2 shown]
	s_lshl_b64 s[2:3], s[2:3], 1
	v_fma_mixhi_f16 v10, s4, v7, 0
	s_add_u32 s0, s0, s2
	s_addc_u32 s1, s1, s3
	global_store_b128 v1, v[10:13], s[0:1]
.LBB21_4:
	s_nop 0
	s_sendmsg sendmsg(MSG_DEALLOC_VGPRS)
	s_endpgm
	.section	.rodata,"a",@progbits
	.p2align	6, 0x0
	.amdhsa_kernel _Z30fast_hadamard_transform_kernelI37fast_hadamard_transform_kernel_traitsILi256ELi11E6__halfEEv18HadamardParamsBase
		.amdhsa_group_segment_fixed_size 0
		.amdhsa_private_segment_fixed_size 0
		.amdhsa_kernarg_size 56
		.amdhsa_user_sgpr_count 15
		.amdhsa_user_sgpr_dispatch_ptr 0
		.amdhsa_user_sgpr_queue_ptr 0
		.amdhsa_user_sgpr_kernarg_segment_ptr 1
		.amdhsa_user_sgpr_dispatch_id 0
		.amdhsa_user_sgpr_private_segment_size 0
		.amdhsa_wavefront_size32 1
		.amdhsa_uses_dynamic_stack 0
		.amdhsa_enable_private_segment 0
		.amdhsa_system_sgpr_workgroup_id_x 1
		.amdhsa_system_sgpr_workgroup_id_y 0
		.amdhsa_system_sgpr_workgroup_id_z 0
		.amdhsa_system_sgpr_workgroup_info 0
		.amdhsa_system_vgpr_workitem_id 0
		.amdhsa_next_free_vgpr 24
		.amdhsa_next_free_sgpr 16
		.amdhsa_reserve_vcc 1
		.amdhsa_float_round_mode_32 0
		.amdhsa_float_round_mode_16_64 0
		.amdhsa_float_denorm_mode_32 3
		.amdhsa_float_denorm_mode_16_64 3
		.amdhsa_dx10_clamp 1
		.amdhsa_ieee_mode 1
		.amdhsa_fp16_overflow 0
		.amdhsa_workgroup_processor_mode 1
		.amdhsa_memory_ordered 1
		.amdhsa_forward_progress 0
		.amdhsa_shared_vgpr_count 0
		.amdhsa_exception_fp_ieee_invalid_op 0
		.amdhsa_exception_fp_denorm_src 0
		.amdhsa_exception_fp_ieee_div_zero 0
		.amdhsa_exception_fp_ieee_overflow 0
		.amdhsa_exception_fp_ieee_underflow 0
		.amdhsa_exception_fp_ieee_inexact 0
		.amdhsa_exception_int_div_zero 0
	.end_amdhsa_kernel
	.section	.text._Z30fast_hadamard_transform_kernelI37fast_hadamard_transform_kernel_traitsILi256ELi11E6__halfEEv18HadamardParamsBase,"axG",@progbits,_Z30fast_hadamard_transform_kernelI37fast_hadamard_transform_kernel_traitsILi256ELi11E6__halfEEv18HadamardParamsBase,comdat
.Lfunc_end21:
	.size	_Z30fast_hadamard_transform_kernelI37fast_hadamard_transform_kernel_traitsILi256ELi11E6__halfEEv18HadamardParamsBase, .Lfunc_end21-_Z30fast_hadamard_transform_kernelI37fast_hadamard_transform_kernel_traitsILi256ELi11E6__halfEEv18HadamardParamsBase
                                        ; -- End function
	.section	.AMDGPU.csdata,"",@progbits
; Kernel info:
; codeLenInByte = 2300
; NumSgprs: 18
; NumVgprs: 24
; ScratchSize: 0
; MemoryBound: 0
; FloatMode: 240
; IeeeMode: 1
; LDSByteSize: 0 bytes/workgroup (compile time only)
; SGPRBlocks: 2
; VGPRBlocks: 2
; NumSGPRsForWavesPerEU: 18
; NumVGPRsForWavesPerEU: 24
; Occupancy: 16
; WaveLimiterHint : 0
; COMPUTE_PGM_RSRC2:SCRATCH_EN: 0
; COMPUTE_PGM_RSRC2:USER_SGPR: 15
; COMPUTE_PGM_RSRC2:TRAP_HANDLER: 0
; COMPUTE_PGM_RSRC2:TGID_X_EN: 1
; COMPUTE_PGM_RSRC2:TGID_Y_EN: 0
; COMPUTE_PGM_RSRC2:TGID_Z_EN: 0
; COMPUTE_PGM_RSRC2:TIDIG_COMP_CNT: 0
	.section	.text._Z30fast_hadamard_transform_kernelI37fast_hadamard_transform_kernel_traitsILi256ELi12E6__halfEEv18HadamardParamsBase,"axG",@progbits,_Z30fast_hadamard_transform_kernelI37fast_hadamard_transform_kernel_traitsILi256ELi12E6__halfEEv18HadamardParamsBase,comdat
	.protected	_Z30fast_hadamard_transform_kernelI37fast_hadamard_transform_kernel_traitsILi256ELi12E6__halfEEv18HadamardParamsBase ; -- Begin function _Z30fast_hadamard_transform_kernelI37fast_hadamard_transform_kernel_traitsILi256ELi12E6__halfEEv18HadamardParamsBase
	.globl	_Z30fast_hadamard_transform_kernelI37fast_hadamard_transform_kernel_traitsILi256ELi12E6__halfEEv18HadamardParamsBase
	.p2align	8
	.type	_Z30fast_hadamard_transform_kernelI37fast_hadamard_transform_kernel_traitsILi256ELi12E6__halfEEv18HadamardParamsBase,@function
_Z30fast_hadamard_transform_kernelI37fast_hadamard_transform_kernel_traitsILi256ELi12E6__halfEEv18HadamardParamsBase: ; @_Z30fast_hadamard_transform_kernelI37fast_hadamard_transform_kernel_traitsILi256ELi12E6__halfEEv18HadamardParamsBase
; %bb.0:
	s_clause 0x3
	s_load_b128 s[8:11], s[0:1], 0x10
	s_load_b32 s2, s[0:1], 0x4
	s_load_b128 s[16:19], s[0:1], 0x28
	s_load_b32 s3, s[0:1], 0x44
	s_ashr_i32 s12, s15, 31
	v_lshlrev_b32_e32 v9, 3, v0
	v_dual_mov_b32 v1, 0 :: v_dual_mov_b32 v2, 0
	v_dual_mov_b32 v4, 0 :: v_dual_mov_b32 v3, 0
	;; [unrolled: 1-line block ×4, first 2 shown]
	v_lshlrev_b32_e32 v16, 4, v0
	s_waitcnt lgkmcnt(0)
	s_mul_hi_u32 s4, s8, s15
	s_mul_i32 s5, s8, s12
	s_mul_i32 s6, s9, s15
	s_add_i32 s5, s4, s5
	s_mul_i32 s4, s8, s15
	s_add_i32 s5, s5, s6
	v_cmp_gt_u32_e32 vcc_lo, s2, v9
	v_mov_b32_e32 v9, 0
	s_lshl_b64 s[4:5], s[4:5], 1
	s_delay_alu instid0(SALU_CYCLE_1)
	s_add_u32 s4, s16, s4
	s_addc_u32 s5, s17, s5
	s_and_saveexec_b32 s6, vcc_lo
	s_cbranch_execz .LBB22_2
; %bb.1:
	global_load_b128 v[7:10], v16, s[4:5]
	s_waitcnt vmcnt(0)
	v_cvt_f32_f16_e32 v6, v7
	v_lshrrev_b32_e32 v4, 16, v7
	v_lshrrev_b32_e32 v7, 16, v8
	;; [unrolled: 1-line block ×4, first 2 shown]
	v_cvt_f32_f16_e32 v5, v8
	v_cvt_f32_f16_e32 v3, v9
	;; [unrolled: 1-line block ×7, first 2 shown]
.LBB22_2:
	s_or_b32 exec_lo, exec_lo, s6
	s_and_b32 s3, 0xffff, s3
	v_dual_mov_b32 v11, 0 :: v_dual_mov_b32 v14, 0
	v_dual_mov_b32 v10, 0 :: v_dual_add_nc_u32 v17, s3, v0
	v_dual_mov_b32 v12, 0 :: v_dual_mov_b32 v13, 0
	s_delay_alu instid0(VALU_DEP_2) | instskip(SKIP_1) | instid1(VALU_DEP_2)
	v_dual_mov_b32 v15, 0 :: v_dual_lshlrev_b32 v18, 3, v17
	v_lshlrev_b32_e32 v17, 4, v17
	v_cmp_gt_u32_e64 s2, s2, v18
	v_mov_b32_e32 v18, 0
	s_delay_alu instid0(VALU_DEP_2)
	s_and_saveexec_b32 s3, s2
	s_cbranch_execz .LBB22_4
; %bb.3:
	global_load_b128 v[18:21], v17, s[4:5]
	s_waitcnt vmcnt(0)
	v_lshrrev_b32_e32 v11, 16, v18
	v_cvt_f32_f16_e32 v12, v19
	v_lshrrev_b32_e32 v14, 16, v19
	v_cvt_f32_f16_e32 v10, v20
	v_lshrrev_b32_e32 v19, 16, v20
	v_lshrrev_b32_e32 v20, 16, v21
	v_cvt_f32_f16_e32 v13, v18
	v_cvt_f32_f16_e32 v1, v21
	;; [unrolled: 1-line block ×6, first 2 shown]
.LBB22_4:
	s_or_b32 exec_lo, exec_lo, s3
	v_mbcnt_lo_u32_b32 v20, -1, 0
	v_dual_add_f32 v19, v9, v6 :: v_dual_sub_f32 v6, v6, v9
	v_add_f32_e32 v9, v18, v13
	v_dual_sub_f32 v13, v13, v18 :: v_dual_add_f32 v18, v8, v5
	s_delay_alu instid0(VALU_DEP_4)
	v_xor_b32_e32 v21, 1, v20
	v_sub_f32_e32 v5, v5, v8
	v_add_f32_e32 v8, v15, v12
	v_sub_f32_e32 v12, v12, v15
	v_add_f32_e32 v15, v7, v3
	;; [unrolled: 2-line block ×4, first 2 shown]
	v_sub_f32_e32 v2, v2, v4
	v_dual_add_f32 v4, v11, v1 :: v_dual_sub_f32 v1, v1, v11
	v_cmp_gt_i32_e64 s3, 32, v21
	v_dual_add_f32 v11, v18, v19 :: v_dual_sub_f32 v18, v19, v18
	v_dual_add_f32 v19, v8, v9 :: v_dual_sub_f32 v8, v9, v8
	v_add_f32_e32 v9, v5, v6
	v_sub_f32_e32 v5, v6, v5
	v_add_f32_e32 v6, v12, v13
	v_dual_sub_f32 v12, v13, v12 :: v_dual_add_f32 v13, v14, v15
	v_dual_sub_f32 v14, v15, v14 :: v_dual_add_f32 v15, v4, v7
	;; [unrolled: 1-line block ×3, first 2 shown]
	v_sub_f32_e32 v2, v3, v2
	v_dual_add_f32 v3, v1, v10 :: v_dual_sub_f32 v10, v10, v1
	v_cndmask_b32_e64 v1, v20, v21, s3
	v_dual_add_f32 v22, v13, v11 :: v_dual_sub_f32 v11, v11, v13
	v_add_f32_e32 v13, v15, v19
	v_sub_f32_e32 v15, v19, v15
	v_add_f32_e32 v19, v7, v9
	v_lshlrev_b32_e32 v1, 2, v1
	v_dual_sub_f32 v7, v9, v7 :: v_dual_add_f32 v26, v2, v5
	v_add_f32_e32 v25, v4, v8
	v_sub_f32_e32 v4, v8, v4
	v_sub_f32_e32 v2, v5, v2
	ds_bpermute_b32 v23, v1, v19
	v_add_f32_e32 v9, v14, v18
	v_sub_f32_e32 v14, v18, v14
	v_and_b32_e32 v18, 1, v0
	ds_bpermute_b32 v8, v1, v26
	v_dual_add_f32 v29, v10, v12 :: v_dual_sub_f32 v10, v12, v10
	ds_bpermute_b32 v27, v1, v14
	v_cmp_eq_u32_e64 s3, 0, v18
	ds_bpermute_b32 v18, v1, v11
	ds_bpermute_b32 v28, v1, v2
	s_waitcnt lgkmcnt(0)
	s_barrier
	v_cndmask_b32_e64 v11, -v11, v11, s3
	v_cndmask_b32_e64 v12, -v26, v26, s3
	v_add_f32_e32 v21, v3, v6
	v_cndmask_b32_e64 v5, -v22, v22, s3
	v_cndmask_b32_e64 v19, -v19, v19, s3
	;; [unrolled: 1-line block ×4, first 2 shown]
	buffer_gl0_inv
	v_add_f32_e32 v8, v12, v8
	v_dual_add_f32 v12, v14, v27 :: v_dual_add_f32 v11, v11, v18
	v_xor_b32_e32 v18, 2, v20
	v_add_f32_e32 v14, v2, v28
	v_cndmask_b32_e64 v2, -v13, v13, s3
	s_delay_alu instid0(VALU_DEP_3) | instskip(NEXT) | instid1(VALU_DEP_1)
	v_cmp_gt_i32_e64 s4, 32, v18
	v_cndmask_b32_e64 v18, v20, v18, s4
	v_sub_f32_e32 v3, v6, v3
	ds_bpermute_b32 v6, v1, v22
	ds_bpermute_b32 v22, v1, v7
	v_cndmask_b32_e64 v7, -v7, v7, s3
	s_waitcnt lgkmcnt(1)
	v_dual_add_f32 v5, v5, v6 :: v_dual_add_f32 v6, v19, v23
	ds_bpermute_b32 v24, v1, v9
	ds_bpermute_b32 v19, v1, v13
	v_cndmask_b32_e64 v9, -v9, v9, s3
	ds_bpermute_b32 v23, v1, v21
	ds_bpermute_b32 v13, v1, v29
	v_cndmask_b32_e64 v21, -v21, v21, s3
	s_waitcnt lgkmcnt(2)
	v_dual_add_f32 v19, v2, v19 :: v_dual_lshlrev_b32 v2, 2, v18
	ds_bpermute_b32 v26, v1, v3
	v_cndmask_b32_e64 v3, -v3, v3, s3
	v_add_f32_e32 v9, v9, v24
	ds_bpermute_b32 v24, v1, v25
	v_cndmask_b32_e64 v25, -v25, v25, s3
	ds_bpermute_b32 v28, v2, v6
	s_waitcnt lgkmcnt(4)
	v_add_f32_e32 v21, v21, v23
	ds_bpermute_b32 v18, v1, v4
	ds_bpermute_b32 v31, v2, v14
	;; [unrolled: 1-line block ×4, first 2 shown]
	s_waitcnt lgkmcnt(5)
	v_add_f32_e32 v23, v25, v24
	v_cndmask_b32_e64 v24, -v29, v29, s3
	ds_bpermute_b32 v25, v1, v10
	v_add_f32_e32 v7, v7, v22
	ds_bpermute_b32 v22, v1, v15
	v_cndmask_b32_e64 v15, -v15, v15, s3
	v_dual_add_f32 v13, v24, v13 :: v_dual_and_b32 v24, 2, v0
	s_delay_alu instid0(VALU_DEP_1)
	v_cmp_eq_u32_e64 s4, 0, v24
	ds_bpermute_b32 v24, v2, v11
	v_cndmask_b32_e64 v6, -v6, v6, s4
	v_cndmask_b32_e64 v14, -v14, v14, s4
	;; [unrolled: 1-line block ×4, first 2 shown]
	s_waitcnt lgkmcnt(7)
	v_add_f32_e32 v6, v6, v28
	s_waitcnt lgkmcnt(1)
	v_dual_add_f32 v14, v14, v31 :: v_dual_add_f32 v15, v15, v22
	v_add_f32_e32 v22, v3, v26
	v_cndmask_b32_e64 v3, -v4, v4, s3
	v_cndmask_b32_e64 v4, -v10, v10, s3
	ds_bpermute_b32 v10, v2, v8
	ds_bpermute_b32 v29, v2, v9
	v_dual_add_f32 v5, v5, v27 :: v_dual_add_f32 v12, v12, v30
	v_add_f32_e32 v18, v3, v18
	v_add_f32_e32 v4, v4, v25
	ds_bpermute_b32 v26, v2, v7
	v_cndmask_b32_e64 v3, -v8, v8, s4
	v_cndmask_b32_e64 v8, -v11, v11, s4
	ds_bpermute_b32 v11, v2, v19
	ds_bpermute_b32 v25, v2, v21
	v_cndmask_b32_e64 v7, -v7, v7, s4
	v_cndmask_b32_e64 v21, -v21, v21, s4
	s_waitcnt lgkmcnt(5)
	v_add_f32_e32 v8, v8, v24
	v_xor_b32_e32 v24, 4, v20
	ds_bpermute_b32 v28, v2, v22
	v_cndmask_b32_e64 v9, -v9, v9, s4
	v_cndmask_b32_e64 v22, -v22, v22, s4
	v_cmp_gt_i32_e64 s5, 32, v24
	s_waitcnt lgkmcnt(5)
	v_add_f32_e32 v10, v3, v10
	v_cndmask_b32_e64 v3, -v19, v19, s4
	ds_bpermute_b32 v19, v2, v13
	v_cndmask_b32_e64 v13, -v13, v13, s4
	v_cndmask_b32_e64 v24, v20, v24, s5
	ds_bpermute_b32 v27, v2, v23
	v_cndmask_b32_e64 v23, -v23, v23, s4
	s_waitcnt lgkmcnt(6)
	v_add_f32_e32 v9, v9, v29
	s_waitcnt lgkmcnt(3)
	v_add_f32_e32 v21, v21, v25
	ds_bpermute_b32 v25, v2, v4
	v_cndmask_b32_e64 v4, -v4, v4, s4
	v_add_f32_e32 v11, v3, v11
	v_lshlrev_b32_e32 v3, 2, v24
	ds_bpermute_b32 v24, v2, v18
	v_cndmask_b32_e64 v18, -v18, v18, s4
	v_add_f32_e32 v7, v7, v26
	ds_bpermute_b32 v26, v2, v15
	v_cndmask_b32_e64 v15, -v15, v15, s4
	s_waitcnt lgkmcnt(4)
	v_dual_add_f32 v22, v22, v28 :: v_dual_add_f32 v13, v13, v19
	v_and_b32_e32 v19, 4, v0
	s_delay_alu instid0(VALU_DEP_1)
	v_cmp_eq_u32_e64 s5, 0, v19
	s_waitcnt lgkmcnt(2)
	v_add_f32_e32 v4, v4, v25
	s_waitcnt lgkmcnt(0)
	v_dual_add_f32 v18, v18, v24 :: v_dual_add_f32 v15, v15, v26
	ds_bpermute_b32 v26, v3, v8
	v_cndmask_b32_e64 v8, -v8, v8, s5
	s_waitcnt lgkmcnt(0)
	s_delay_alu instid0(VALU_DEP_1)
	v_add_f32_e32 v8, v8, v26
	ds_bpermute_b32 v19, v3, v10
	ds_bpermute_b32 v29, v3, v6
	v_cndmask_b32_e64 v6, -v6, v6, s5
	v_add_f32_e32 v23, v23, v27
	ds_bpermute_b32 v27, v3, v5
	v_cndmask_b32_e64 v10, -v10, v10, s5
	ds_bpermute_b32 v28, v3, v7
	v_cndmask_b32_e64 v5, -v5, v5, s5
	;; [unrolled: 2-line block ×4, first 2 shown]
	ds_bpermute_b32 v30, v3, v9
	ds_bpermute_b32 v31, v3, v12
	v_cndmask_b32_e64 v14, -v14, v14, s5
	v_cndmask_b32_e64 v9, -v9, v9, s5
	;; [unrolled: 1-line block ×3, first 2 shown]
	s_waitcnt lgkmcnt(7)
	v_add_f32_e32 v10, v10, v19
	s_waitcnt lgkmcnt(6)
	v_add_f32_e32 v6, v6, v29
	ds_bpermute_b32 v25, v3, v21
	ds_bpermute_b32 v29, v3, v22
	v_cndmask_b32_e64 v21, -v21, v21, s5
	v_cndmask_b32_e64 v22, -v22, v22, s5
	s_waitcnt lgkmcnt(7)
	v_add_f32_e32 v5, v5, v27
	ds_bpermute_b32 v27, v3, v23
	v_cndmask_b32_e64 v23, -v23, v23, s5
	s_waitcnt lgkmcnt(5)
	v_add_f32_e32 v14, v14, v32
	ds_bpermute_b32 v19, v3, v13
	s_waitcnt lgkmcnt(4)
	v_dual_add_f32 v9, v9, v30 :: v_dual_add_f32 v12, v12, v31
	v_cndmask_b32_e64 v13, -v13, v13, s5
	s_waitcnt lgkmcnt(3)
	v_add_f32_e32 v21, v21, v25
	ds_bpermute_b32 v25, v3, v18
	v_cndmask_b32_e64 v18, -v18, v18, s5
	v_add_f32_e32 v7, v7, v28
	v_xor_b32_e32 v28, 8, v20
	s_waitcnt lgkmcnt(2)
	v_add_f32_e32 v23, v23, v27
	ds_bpermute_b32 v27, v3, v4
	v_cndmask_b32_e64 v4, -v4, v4, s5
	v_add_f32_e32 v11, v11, v24
	v_cmp_gt_i32_e64 s6, 32, v28
	v_add_f32_e32 v22, v22, v29
	s_delay_alu instid0(VALU_DEP_2) | instskip(NEXT) | instid1(VALU_DEP_1)
	v_cndmask_b32_e64 v28, v20, v28, s6
	v_lshlrev_b32_e32 v24, 2, v28
	ds_bpermute_b32 v26, v3, v15
	v_cndmask_b32_e64 v15, -v15, v15, s5
	s_waitcnt lgkmcnt(2)
	v_add_f32_e32 v18, v18, v25
	ds_bpermute_b32 v31, v24, v8
	ds_bpermute_b32 v30, v24, v6
	s_waitcnt lgkmcnt(3)
	v_add_f32_e32 v4, v4, v27
	ds_bpermute_b32 v32, v24, v12
	ds_bpermute_b32 v28, v24, v5
	;; [unrolled: 1-line block ×5, first 2 shown]
	s_waitcnt lgkmcnt(7)
	v_dual_add_f32 v15, v15, v26 :: v_dual_and_b32 v26, 8, v0
	s_delay_alu instid0(VALU_DEP_1)
	v_cmp_eq_u32_e64 s6, 0, v26
	ds_bpermute_b32 v26, v24, v7
	v_cndmask_b32_e64 v12, -v12, v12, s6
	v_add_f32_e32 v13, v13, v19
	ds_bpermute_b32 v19, v24, v9
	v_cndmask_b32_e64 v6, -v6, v6, s6
	v_cndmask_b32_e64 v9, -v9, v9, s6
	s_waitcnt lgkmcnt(6)
	v_add_f32_e32 v12, v12, v32
	v_cndmask_b32_e64 v5, -v5, v5, s6
	v_cndmask_b32_e64 v14, -v14, v14, s6
	v_add_f32_e32 v6, v6, v30
	v_cndmask_b32_e64 v11, -v11, v11, s6
	v_cndmask_b32_e64 v10, -v10, v10, s6
	s_waitcnt lgkmcnt(2)
	v_dual_add_f32 v5, v5, v28 :: v_dual_add_f32 v14, v14, v33
	v_xor_b32_e32 v28, 16, v20
	v_add_f32_e32 v25, v11, v25
	v_cndmask_b32_e64 v7, -v7, v7, s6
	ds_bpermute_b32 v30, v24, v22
	v_add_f32_e32 v10, v10, v29
	v_cmp_gt_i32_e64 s7, 32, v28
	v_cndmask_b32_e64 v8, -v8, v8, s6
	ds_bpermute_b32 v27, v24, v13
	v_cndmask_b32_e64 v13, -v13, v13, s6
	s_waitcnt lgkmcnt(2)
	v_add_f32_e32 v9, v9, v19
	ds_bpermute_b32 v19, v24, v21
	v_cndmask_b32_e64 v21, -v21, v21, s6
	v_cndmask_b32_e64 v11, v20, v28, s7
	v_add_f32_e32 v8, v8, v31
	ds_bpermute_b32 v29, v24, v15
	v_cndmask_b32_e64 v20, -v23, v23, s6
	v_cndmask_b32_e64 v15, -v15, v15, s6
	s_waitcnt lgkmcnt(1)
	v_add_f32_e32 v19, v21, v19
	v_lshlrev_b32_e32 v21, 2, v11
	v_cndmask_b32_e64 v11, -v22, v22, s6
	ds_bpermute_b32 v22, v24, v18
	ds_bpermute_b32 v28, v21, v5
	v_add_f32_e32 v7, v7, v26
	ds_bpermute_b32 v26, v24, v23
	ds_bpermute_b32 v23, v24, v4
	v_and_b32_e32 v24, 16, v0
	v_cndmask_b32_e64 v4, -v4, v4, s6
	s_delay_alu instid0(VALU_DEP_2)
	v_cmp_eq_u32_e64 s7, 0, v24
	v_add_f32_e32 v24, v11, v30
	v_cndmask_b32_e64 v11, -v18, v18, s6
	s_load_b32 s6, s[0:1], 0x20
	s_mul_i32 s0, s10, s12
	v_cndmask_b32_e64 v5, -v5, v5, s7
	s_mul_hi_u32 s1, s10, s15
	s_waitcnt lgkmcnt(0)
	v_add_f32_e32 v22, v11, v22
	ds_bpermute_b32 v31, v21, v6
	ds_bpermute_b32 v32, v21, v9
	v_cndmask_b32_e64 v9, -v9, v9, s7
	v_dual_add_f32 v15, v15, v29 :: v_dual_add_f32 v20, v20, v26
	ds_bpermute_b32 v26, v21, v8
	ds_bpermute_b32 v18, v21, v10
	;; [unrolled: 1-line block ×4, first 2 shown]
	v_cndmask_b32_e64 v8, -v8, v8, s7
	v_add_f32_e32 v13, v13, v27
	v_cndmask_b32_e64 v11, -v12, v12, s7
	v_dual_add_f32 v23, v4, v23 :: v_dual_add_f32 v4, v5, v28
	ds_bpermute_b32 v27, v21, v7
	v_cndmask_b32_e64 v6, -v6, v6, s7
	ds_bpermute_b32 v28, v21, v25
	v_cndmask_b32_e64 v12, -v14, v14, s7
	v_cndmask_b32_e64 v14, -v19, v19, s7
	s_add_i32 s0, s1, s0
	s_waitcnt lgkmcnt(6)
	v_dual_add_f32 v5, v6, v31 :: v_dual_add_f32 v6, v9, v32
	ds_bpermute_b32 v31, v21, v19
	ds_bpermute_b32 v32, v21, v20
	ds_bpermute_b32 v34, v21, v15
	s_waitcnt lgkmcnt(8)
	v_add_f32_e32 v8, v8, v26
	ds_bpermute_b32 v33, v21, v13
	v_cndmask_b32_e64 v9, -v10, v10, s7
	v_cndmask_b32_e64 v10, -v7, v7, s7
	ds_bpermute_b32 v26, v21, v24
	v_cndmask_b32_e64 v19, -v13, v13, s7
	s_mul_i32 s1, s11, s15
	s_waitcnt lgkmcnt(9)
	v_add_f32_e32 v7, v9, v18
	v_cndmask_b32_e64 v18, -v20, v20, s7
	v_cndmask_b32_e64 v20, -v15, v15, s7
	s_waitcnt lgkmcnt(6)
	v_dual_add_f32 v9, v10, v27 :: v_dual_add_f32 v10, v11, v29
	v_add_f32_e32 v11, v12, v30
	v_cndmask_b32_e64 v12, -v25, v25, s7
	ds_bpermute_b32 v25, v21, v22
	ds_bpermute_b32 v21, v21, v23
	v_lshrrev_b32_e32 v27, 3, v0
	s_waitcnt lgkmcnt(6)
	v_add_f32_e32 v13, v14, v31
	s_waitcnt lgkmcnt(5)
	v_add_f32_e32 v14, v18, v32
	;; [unrolled: 2-line block ×3, first 2 shown]
	v_lshrrev_b32_e32 v20, 5, v0
	s_waitcnt lgkmcnt(3)
	v_add_f32_e32 v15, v19, v33
	v_cndmask_b32_e64 v19, -v24, v24, s7
	v_and_b32_e32 v24, 7, v0
	v_cndmask_b32_e64 v22, -v22, v22, s7
	v_xor_b32_e32 v0, v20, v0
	v_cndmask_b32_e64 v23, -v23, v23, s7
	s_waitcnt lgkmcnt(2)
	v_add_f32_e32 v19, v19, v26
	v_lshl_or_b32 v26, v24, 5, v27
	v_add_f32_e32 v12, v12, v28
	s_add_i32 s1, s0, s1
	s_mul_i32 s0, s10, s15
	s_delay_alu instid0(SALU_CYCLE_1)
	s_lshl_b64 s[0:1], s[0:1], 1
	s_waitcnt lgkmcnt(1)
	v_add_f32_e32 v20, v22, v25
	v_lshl_add_u32 v22, v0, 4, 0
	v_xor_b32_e32 v0, v26, v24
	s_waitcnt lgkmcnt(0)
	v_add_f32_e32 v21, v23, v21
	ds_store_b128 v22, v[4:7]
	ds_store_b128 v22, v[8:11] offset:4096
	v_lshl_add_u32 v23, v0, 4, 0
	ds_store_b128 v22, v[12:15] offset:8192
	ds_store_b128 v22, v[18:21] offset:12288
	s_waitcnt lgkmcnt(0)
	s_barrier
	buffer_gl0_inv
	ds_load_b128 v[4:7], v23
	ds_load_b128 v[8:11], v23 offset:4096
	ds_load_b128 v[12:15], v23 offset:8192
	;; [unrolled: 1-line block ×3, first 2 shown]
	s_waitcnt lgkmcnt(0)
	s_barrier
	buffer_gl0_inv
	s_add_u32 s0, s18, s0
	s_addc_u32 s1, s19, s1
	ds_bpermute_b32 v0, v1, v4
	ds_bpermute_b32 v24, v1, v5
	;; [unrolled: 1-line block ×4, first 2 shown]
	v_cndmask_b32_e64 v4, -v4, v4, s3
	v_cndmask_b32_e64 v5, -v5, v5, s3
	;; [unrolled: 1-line block ×3, first 2 shown]
	ds_bpermute_b32 v27, v1, v8
	ds_bpermute_b32 v29, v1, v10
	ds_bpermute_b32 v28, v1, v9
	ds_bpermute_b32 v30, v1, v11
	ds_bpermute_b32 v31, v1, v15
	ds_bpermute_b32 v32, v1, v18
	v_cndmask_b32_e64 v15, -v15, v15, s3
	v_cndmask_b32_e64 v18, -v18, v18, s3
	s_waitcnt lgkmcnt(9)
	v_add_f32_e32 v0, v4, v0
	s_waitcnt lgkmcnt(7)
	v_dual_add_f32 v4, v5, v24 :: v_dual_add_f32 v5, v6, v25
	v_cndmask_b32_e64 v6, -v7, v7, s3
	v_cndmask_b32_e64 v7, -v8, v8, s3
	;; [unrolled: 1-line block ×5, first 2 shown]
	ds_bpermute_b32 v11, v1, v12
	ds_bpermute_b32 v24, v1, v13
	s_waitcnt lgkmcnt(5)
	v_add_f32_e32 v8, v8, v28
	ds_bpermute_b32 v25, v1, v14
	v_add_f32_e32 v6, v6, v26
	ds_bpermute_b32 v26, v1, v19
	s_waitcnt lgkmcnt(6)
	v_dual_add_f32 v7, v7, v27 :: v_dual_add_f32 v10, v10, v30
	v_add_f32_e32 v9, v9, v29
	v_cndmask_b32_e64 v12, -v12, v12, s3
	v_cndmask_b32_e64 v13, -v13, v13, s3
	;; [unrolled: 1-line block ×3, first 2 shown]
	ds_bpermute_b32 v27, v1, v20
	ds_bpermute_b32 v1, v1, v21
	;; [unrolled: 1-line block ×4, first 2 shown]
	v_cndmask_b32_e64 v0, -v0, v0, s4
	v_cndmask_b32_e64 v4, -v4, v4, s4
	ds_bpermute_b32 v30, v2, v8
	s_waitcnt lgkmcnt(7)
	v_dual_add_f32 v11, v12, v11 :: v_dual_add_f32 v12, v13, v24
	ds_bpermute_b32 v24, v2, v6
	s_waitcnt lgkmcnt(7)
	v_dual_add_f32 v13, v14, v25 :: v_dual_add_f32 v14, v15, v31
	v_add_f32_e32 v15, v18, v32
	v_cndmask_b32_e64 v18, -v19, v19, s3
	v_cndmask_b32_e64 v19, -v20, v20, s3
	;; [unrolled: 1-line block ×3, first 2 shown]
	ds_bpermute_b32 v21, v2, v5
	ds_bpermute_b32 v25, v2, v7
	s_waitcnt lgkmcnt(7)
	v_dual_add_f32 v18, v18, v26 :: v_dual_add_f32 v19, v19, v27
	ds_bpermute_b32 v26, v2, v11
	s_waitcnt lgkmcnt(7)
	v_add_f32_e32 v1, v20, v1
	s_waitcnt lgkmcnt(6)
	v_add_f32_e32 v20, v4, v29
	v_cndmask_b32_e64 v4, -v5, v5, s4
	ds_bpermute_b32 v31, v2, v9
	v_cndmask_b32_e64 v5, -v6, v6, s4
	v_cndmask_b32_e64 v6, -v7, v7, s4
	;; [unrolled: 1-line block ×4, first 2 shown]
	ds_bpermute_b32 v9, v2, v10
	s_waitcnt lgkmcnt(7)
	v_add_f32_e32 v0, v0, v28
	ds_bpermute_b32 v27, v2, v12
	ds_bpermute_b32 v28, v2, v13
	;; [unrolled: 1-line block ×3, first 2 shown]
	s_waitcnt lgkmcnt(8)
	v_add_f32_e32 v5, v5, v24
	ds_bpermute_b32 v24, v2, v18
	s_waitcnt lgkmcnt(8)
	v_add_f32_e32 v21, v4, v21
	v_cndmask_b32_e64 v4, -v10, v10, s4
	v_cndmask_b32_e64 v10, -v11, v11, s4
	s_waitcnt lgkmcnt(7)
	v_add_f32_e32 v6, v6, v25
	v_cndmask_b32_e64 v11, -v12, v12, s4
	v_cndmask_b32_e64 v12, -v13, v13, s4
	;; [unrolled: 1-line block ×3, first 2 shown]
	ds_bpermute_b32 v14, v2, v15
	ds_bpermute_b32 v25, v2, v19
	s_waitcnt lgkmcnt(8)
	v_add_f32_e32 v10, v10, v26
	ds_bpermute_b32 v2, v2, v1
	v_cndmask_b32_e64 v1, -v1, v1, s4
	s_waitcnt lgkmcnt(8)
	v_dual_add_f32 v7, v7, v30 :: v_dual_add_f32 v8, v8, v31
	s_waitcnt lgkmcnt(7)
	v_add_f32_e32 v9, v4, v9
	v_cndmask_b32_e64 v4, -v15, v15, s4
	v_cndmask_b32_e64 v15, -v18, v18, s4
	ds_bpermute_b32 v30, v3, v0
	v_cndmask_b32_e64 v18, -v19, v19, s4
	s_waitcnt lgkmcnt(6)
	v_dual_add_f32 v11, v11, v27 :: v_dual_add_f32 v12, v12, v28
	s_waitcnt lgkmcnt(4)
	v_add_f32_e32 v15, v15, v24
	ds_bpermute_b32 v19, v3, v20
	ds_bpermute_b32 v27, v3, v5
	v_add_f32_e32 v13, v13, v29
	ds_bpermute_b32 v28, v3, v6
	ds_bpermute_b32 v29, v3, v7
	s_waitcnt lgkmcnt(7)
	v_add_f32_e32 v14, v4, v14
	v_cndmask_b32_e64 v0, -v0, v0, s5
	s_waitcnt lgkmcnt(6)
	v_add_f32_e32 v18, v18, v25
	s_waitcnt lgkmcnt(5)
	v_add_f32_e32 v24, v1, v2
	ds_bpermute_b32 v26, v3, v21
	v_cndmask_b32_e64 v1, -v21, v21, s5
	v_cndmask_b32_e64 v2, -v5, v5, s5
	;; [unrolled: 1-line block ×3, first 2 shown]
	ds_bpermute_b32 v25, v3, v8
	ds_bpermute_b32 v31, v3, v10
	s_waitcnt lgkmcnt(7)
	v_add_f32_e32 v4, v0, v30
	v_cndmask_b32_e64 v0, -v20, v20, s5
	v_cndmask_b32_e64 v20, -v6, v6, s5
	ds_bpermute_b32 v32, v3, v11
	ds_bpermute_b32 v33, v3, v12
	s_waitcnt lgkmcnt(7)
	v_add_f32_e32 v7, v2, v27
	v_cndmask_b32_e64 v2, -v8, v8, s5
	v_add_f32_e32 v5, v0, v19
	ds_bpermute_b32 v19, v3, v13
	s_waitcnt lgkmcnt(7)
	v_add_f32_e32 v0, v20, v28
	ds_bpermute_b32 v20, v3, v14
	ds_bpermute_b32 v27, v3, v24
	v_cndmask_b32_e64 v8, -v10, v10, s5
	s_waitcnt lgkmcnt(7)
	v_add_f32_e32 v6, v1, v26
	v_add_f32_e32 v1, v21, v29
	ds_bpermute_b32 v30, v3, v9
	ds_bpermute_b32 v21, v3, v15
	;; [unrolled: 1-line block ×3, first 2 shown]
	v_cndmask_b32_e64 v3, -v9, v9, s5
	v_cndmask_b32_e64 v9, -v11, v11, s5
	;; [unrolled: 1-line block ×8, first 2 shown]
	s_waitcnt lgkmcnt(9)
	v_add_f32_e32 v2, v2, v25
	s_waitcnt lgkmcnt(7)
	v_dual_add_f32 v8, v8, v31 :: v_dual_add_f32 v9, v9, v32
	s_waitcnt lgkmcnt(5)
	v_dual_add_f32 v10, v10, v33 :: v_dual_add_f32 v11, v11, v19
	;; [unrolled: 2-line block ×3, first 2 shown]
	s_waitcnt lgkmcnt(2)
	v_add_f32_e32 v3, v3, v30
	s_waitcnt lgkmcnt(0)
	v_dual_add_f32 v13, v13, v21 :: v_dual_add_f32 v14, v14, v26
	ds_store_b128 v23, v[4:7]
	ds_store_b128 v23, v[0:3] offset:4096
	ds_store_b128 v23, v[8:11] offset:8192
	;; [unrolled: 1-line block ×3, first 2 shown]
	s_waitcnt lgkmcnt(0)
	s_barrier
	buffer_gl0_inv
	ds_load_b128 v[0:3], v22
	ds_load_b128 v[4:7], v22 offset:4096
	ds_load_b128 v[12:15], v22 offset:8192
	;; [unrolled: 1-line block ×3, first 2 shown]
	s_and_saveexec_b32 s3, vcc_lo
	s_cbranch_execnz .LBB22_7
; %bb.5:
	s_or_b32 exec_lo, exec_lo, s3
	s_and_saveexec_b32 s3, s2
	s_cbranch_execnz .LBB22_8
.LBB22_6:
	s_nop 0
	s_sendmsg sendmsg(MSG_DEALLOC_VGPRS)
	s_endpgm
.LBB22_7:
	s_waitcnt lgkmcnt(0)
	v_dual_add_f32 v18, v6, v10 :: v_dual_add_f32 v19, v4, v8
	v_dual_add_f32 v24, v3, v15 :: v_dual_add_f32 v25, v2, v14
	;; [unrolled: 1-line block ×4, first 2 shown]
	s_delay_alu instid0(VALU_DEP_4) | instskip(SKIP_3) | instid1(VALU_DEP_4)
	v_fma_mixlo_f16 v21, s6, v18, 0
	v_fma_mixlo_f16 v20, s6, v19, 0
	;; [unrolled: 1-line block ×4, first 2 shown]
	v_fma_mixhi_f16 v21, s6, v22, 0
	s_delay_alu instid0(VALU_DEP_4) | instskip(NEXT) | instid1(VALU_DEP_4)
	v_fma_mixhi_f16 v20, s6, v23, 0
	v_fma_mixhi_f16 v19, s6, v24, 0
	s_delay_alu instid0(VALU_DEP_4)
	v_fma_mixhi_f16 v18, s6, v27, 0
	global_store_b128 v16, v[18:21], s[0:1]
	s_or_b32 exec_lo, exec_lo, s3
	s_and_saveexec_b32 s3, s2
	s_cbranch_execz .LBB22_6
.LBB22_8:
	s_waitcnt lgkmcnt(1)
	v_dual_sub_f32 v13, v1, v13 :: v_dual_sub_f32 v0, v0, v12
	s_waitcnt lgkmcnt(0)
	v_dual_sub_f32 v12, v3, v15 :: v_dual_sub_f32 v1, v6, v10
	v_dual_sub_f32 v4, v4, v8 :: v_dual_sub_f32 v5, v5, v9
	;; [unrolled: 1-line block ×3, first 2 shown]
	s_delay_alu instid0(VALU_DEP_3) | instskip(NEXT) | instid1(VALU_DEP_3)
	v_fma_mixlo_f16 v3, s6, v1, 0
	v_fma_mixlo_f16 v2, s6, v4, 0
	;; [unrolled: 1-line block ×3, first 2 shown]
	s_delay_alu instid0(VALU_DEP_4) | instskip(NEXT) | instid1(VALU_DEP_4)
	v_fma_mixlo_f16 v1, s6, v6, 0
	v_fma_mixhi_f16 v3, s6, v7, 0
	s_delay_alu instid0(VALU_DEP_4) | instskip(NEXT) | instid1(VALU_DEP_4)
	v_fma_mixhi_f16 v2, s6, v5, 0
	v_fma_mixhi_f16 v0, s6, v13, 0
	s_delay_alu instid0(VALU_DEP_4)
	v_fma_mixhi_f16 v1, s6, v12, 0
	global_store_b128 v17, v[0:3], s[0:1]
	s_nop 0
	s_sendmsg sendmsg(MSG_DEALLOC_VGPRS)
	s_endpgm
	.section	.rodata,"a",@progbits
	.p2align	6, 0x0
	.amdhsa_kernel _Z30fast_hadamard_transform_kernelI37fast_hadamard_transform_kernel_traitsILi256ELi12E6__halfEEv18HadamardParamsBase
		.amdhsa_group_segment_fixed_size 0
		.amdhsa_private_segment_fixed_size 0
		.amdhsa_kernarg_size 312
		.amdhsa_user_sgpr_count 15
		.amdhsa_user_sgpr_dispatch_ptr 0
		.amdhsa_user_sgpr_queue_ptr 0
		.amdhsa_user_sgpr_kernarg_segment_ptr 1
		.amdhsa_user_sgpr_dispatch_id 0
		.amdhsa_user_sgpr_private_segment_size 0
		.amdhsa_wavefront_size32 1
		.amdhsa_uses_dynamic_stack 0
		.amdhsa_enable_private_segment 0
		.amdhsa_system_sgpr_workgroup_id_x 1
		.amdhsa_system_sgpr_workgroup_id_y 0
		.amdhsa_system_sgpr_workgroup_id_z 0
		.amdhsa_system_sgpr_workgroup_info 0
		.amdhsa_system_vgpr_workitem_id 0
		.amdhsa_next_free_vgpr 35
		.amdhsa_next_free_sgpr 20
		.amdhsa_reserve_vcc 1
		.amdhsa_float_round_mode_32 0
		.amdhsa_float_round_mode_16_64 0
		.amdhsa_float_denorm_mode_32 3
		.amdhsa_float_denorm_mode_16_64 3
		.amdhsa_dx10_clamp 1
		.amdhsa_ieee_mode 1
		.amdhsa_fp16_overflow 0
		.amdhsa_workgroup_processor_mode 1
		.amdhsa_memory_ordered 1
		.amdhsa_forward_progress 0
		.amdhsa_shared_vgpr_count 0
		.amdhsa_exception_fp_ieee_invalid_op 0
		.amdhsa_exception_fp_denorm_src 0
		.amdhsa_exception_fp_ieee_div_zero 0
		.amdhsa_exception_fp_ieee_overflow 0
		.amdhsa_exception_fp_ieee_underflow 0
		.amdhsa_exception_fp_ieee_inexact 0
		.amdhsa_exception_int_div_zero 0
	.end_amdhsa_kernel
	.section	.text._Z30fast_hadamard_transform_kernelI37fast_hadamard_transform_kernel_traitsILi256ELi12E6__halfEEv18HadamardParamsBase,"axG",@progbits,_Z30fast_hadamard_transform_kernelI37fast_hadamard_transform_kernel_traitsILi256ELi12E6__halfEEv18HadamardParamsBase,comdat
.Lfunc_end22:
	.size	_Z30fast_hadamard_transform_kernelI37fast_hadamard_transform_kernel_traitsILi256ELi12E6__halfEEv18HadamardParamsBase, .Lfunc_end22-_Z30fast_hadamard_transform_kernelI37fast_hadamard_transform_kernel_traitsILi256ELi12E6__halfEEv18HadamardParamsBase
                                        ; -- End function
	.section	.AMDGPU.csdata,"",@progbits
; Kernel info:
; codeLenInByte = 4184
; NumSgprs: 22
; NumVgprs: 35
; ScratchSize: 0
; MemoryBound: 0
; FloatMode: 240
; IeeeMode: 1
; LDSByteSize: 0 bytes/workgroup (compile time only)
; SGPRBlocks: 2
; VGPRBlocks: 4
; NumSGPRsForWavesPerEU: 22
; NumVGPRsForWavesPerEU: 35
; Occupancy: 16
; WaveLimiterHint : 0
; COMPUTE_PGM_RSRC2:SCRATCH_EN: 0
; COMPUTE_PGM_RSRC2:USER_SGPR: 15
; COMPUTE_PGM_RSRC2:TRAP_HANDLER: 0
; COMPUTE_PGM_RSRC2:TGID_X_EN: 1
; COMPUTE_PGM_RSRC2:TGID_Y_EN: 0
; COMPUTE_PGM_RSRC2:TGID_Z_EN: 0
; COMPUTE_PGM_RSRC2:TIDIG_COMP_CNT: 0
	.section	.text._Z30fast_hadamard_transform_kernelI37fast_hadamard_transform_kernel_traitsILi256ELi13E6__halfEEv18HadamardParamsBase,"axG",@progbits,_Z30fast_hadamard_transform_kernelI37fast_hadamard_transform_kernel_traitsILi256ELi13E6__halfEEv18HadamardParamsBase,comdat
	.protected	_Z30fast_hadamard_transform_kernelI37fast_hadamard_transform_kernel_traitsILi256ELi13E6__halfEEv18HadamardParamsBase ; -- Begin function _Z30fast_hadamard_transform_kernelI37fast_hadamard_transform_kernel_traitsILi256ELi13E6__halfEEv18HadamardParamsBase
	.globl	_Z30fast_hadamard_transform_kernelI37fast_hadamard_transform_kernel_traitsILi256ELi13E6__halfEEv18HadamardParamsBase
	.p2align	8
	.type	_Z30fast_hadamard_transform_kernelI37fast_hadamard_transform_kernel_traitsILi256ELi13E6__halfEEv18HadamardParamsBase,@function
_Z30fast_hadamard_transform_kernelI37fast_hadamard_transform_kernel_traitsILi256ELi13E6__halfEEv18HadamardParamsBase: ; @_Z30fast_hadamard_transform_kernelI37fast_hadamard_transform_kernel_traitsILi256ELi13E6__halfEEv18HadamardParamsBase
; %bb.0:
	s_clause 0x3
	s_load_b128 s[8:11], s[0:1], 0x10
	s_load_b32 s4, s[0:1], 0x4
	s_load_b128 s[16:19], s[0:1], 0x28
	s_load_b32 s2, s[0:1], 0x44
	s_ashr_i32 s12, s15, 31
	v_lshlrev_b32_e32 v9, 3, v0
	v_dual_mov_b32 v1, 0 :: v_dual_mov_b32 v2, 0
	v_dual_mov_b32 v3, 0 :: v_dual_mov_b32 v4, 0
	;; [unrolled: 1-line block ×4, first 2 shown]
	v_lshlrev_b32_e32 v32, 4, v0
	s_waitcnt lgkmcnt(0)
	s_mul_hi_u32 s3, s8, s15
	s_mul_i32 s5, s8, s12
	s_mul_i32 s7, s9, s15
	s_add_i32 s3, s3, s5
	s_mul_i32 s6, s8, s15
	s_add_i32 s7, s3, s7
	v_cmp_gt_u32_e32 vcc_lo, s4, v9
	v_mov_b32_e32 v9, 0
	s_lshl_b64 s[6:7], s[6:7], 1
	s_delay_alu instid0(SALU_CYCLE_1)
	s_add_u32 s6, s16, s6
	s_addc_u32 s7, s17, s7
	s_and_saveexec_b32 s3, vcc_lo
	s_cbranch_execz .LBB23_2
; %bb.1:
	global_load_b128 v[8:11], v32, s[6:7]
	s_waitcnt vmcnt(0)
	v_lshrrev_b32_e32 v3, 16, v8
	v_lshrrev_b32_e32 v6, 16, v9
	v_cvt_f32_f16_e32 v4, v10
	v_lshrrev_b32_e32 v10, 16, v10
	v_lshrrev_b32_e32 v12, 16, v11
	v_cvt_f32_f16_e32 v7, v8
	v_cvt_f32_f16_e32 v5, v9
	;; [unrolled: 1-line block ×7, first 2 shown]
.LBB23_2:
	s_or_b32 exec_lo, exec_lo, s3
	s_and_b32 s5, 0xffff, s2
	v_dual_mov_b32 v13, 0 :: v_dual_mov_b32 v12, 0
	v_dual_mov_b32 v10, 0 :: v_dual_add_nc_u32 v17, s5, v0
	v_mov_b32_e32 v11, 0
	v_dual_mov_b32 v15, 0 :: v_dual_mov_b32 v14, 0
	s_delay_alu instid0(VALU_DEP_3) | instskip(SKIP_1) | instid1(VALU_DEP_2)
	v_lshlrev_b32_e32 v16, 3, v17
	v_lshlrev_b32_e32 v33, 4, v17
	v_cmp_gt_u32_e64 s2, s4, v16
	v_mov_b32_e32 v16, 0
	s_delay_alu instid0(VALU_DEP_2)
	s_and_saveexec_b32 s3, s2
	s_cbranch_execz .LBB23_4
; %bb.3:
	global_load_b128 v[18:21], v33, s[6:7]
	s_waitcnt vmcnt(0)
	v_cvt_f32_f16_e32 v14, v18
	v_lshrrev_b32_e32 v10, 16, v18
	v_cvt_f32_f16_e32 v12, v19
	v_lshrrev_b32_e32 v13, 16, v19
	v_lshrrev_b32_e32 v18, 16, v20
	;; [unrolled: 1-line block ×3, first 2 shown]
	v_cvt_f32_f16_e32 v11, v20
	v_cvt_f32_f16_e32 v1, v21
	;; [unrolled: 1-line block ×6, first 2 shown]
.LBB23_4:
	s_or_b32 exec_lo, exec_lo, s3
	v_dual_mov_b32 v17, 0 :: v_dual_add_nc_u32 v26, s5, v17
	v_mov_b32_e32 v20, 0
	v_dual_mov_b32 v18, 0 :: v_dual_mov_b32 v19, 0
	s_delay_alu instid0(VALU_DEP_3) | instskip(SKIP_2) | instid1(VALU_DEP_3)
	v_dual_mov_b32 v22, 0 :: v_dual_lshlrev_b32 v23, 3, v26
	v_dual_mov_b32 v21, 0 :: v_dual_mov_b32 v24, 0
	v_dual_mov_b32 v25, 0 :: v_dual_lshlrev_b32 v34, 4, v26
	v_cmp_gt_u32_e64 s3, s4, v23
	v_mov_b32_e32 v23, 0
	s_delay_alu instid0(VALU_DEP_2)
	s_and_saveexec_b32 s8, s3
	s_cbranch_execz .LBB23_6
; %bb.5:
	global_load_b128 v[27:30], v34, s[6:7]
	s_waitcnt vmcnt(0)
	v_cvt_f32_f16_e32 v23, v27
	v_lshrrev_b32_e32 v19, 16, v27
	v_cvt_f32_f16_e32 v21, v28
	v_lshrrev_b32_e32 v22, 16, v28
	v_lshrrev_b32_e32 v27, 16, v29
	;; [unrolled: 1-line block ×3, first 2 shown]
	v_cvt_f32_f16_e32 v20, v29
	v_cvt_f32_f16_e32 v18, v30
	;; [unrolled: 1-line block ×6, first 2 shown]
.LBB23_6:
	s_or_b32 exec_lo, exec_lo, s8
	v_dual_mov_b32 v26, 0 :: v_dual_add_nc_u32 v35, s5, v26
	v_mov_b32_e32 v27, 0
	v_dual_mov_b32 v29, 0 :: v_dual_mov_b32 v28, 0
	s_delay_alu instid0(VALU_DEP_3) | instskip(SKIP_1) | instid1(VALU_DEP_2)
	v_dual_mov_b32 v31, 0 :: v_dual_lshlrev_b32 v36, 3, v35
	v_dual_mov_b32 v30, 0 :: v_dual_lshlrev_b32 v35, 4, v35
	v_cmp_gt_u32_e64 s4, s4, v36
	v_mov_b32_e32 v36, 0
	s_delay_alu instid0(VALU_DEP_2)
	s_and_saveexec_b32 s5, s4
	s_cbranch_execz .LBB23_8
; %bb.7:
	global_load_b128 v[36:39], v35, s[6:7]
	s_waitcnt vmcnt(0)
	v_lshrrev_b32_e32 v26, 16, v36
	v_cvt_f32_f16_e32 v28, v37
	v_lshrrev_b32_e32 v29, 16, v37
	v_cvt_f32_f16_e32 v27, v38
	v_lshrrev_b32_e32 v37, 16, v38
	v_lshrrev_b32_e32 v38, 16, v39
	v_cvt_f32_f16_e32 v30, v36
	v_cvt_f32_f16_e32 v17, v39
	;; [unrolled: 1-line block ×6, first 2 shown]
.LBB23_8:
	s_or_b32 exec_lo, exec_lo, s5
	v_add_f32_e32 v37, v9, v7
	v_sub_f32_e32 v7, v7, v9
	v_dual_add_f32 v9, v16, v14 :: v_dual_sub_f32 v14, v14, v16
	v_dual_add_f32 v16, v25, v23 :: v_dual_sub_f32 v23, v23, v25
	;; [unrolled: 1-line block ×4, first 2 shown]
	v_add_f32_e32 v8, v15, v12
	v_sub_f32_e32 v12, v12, v15
	v_add_f32_e32 v15, v24, v21
	v_sub_f32_e32 v21, v21, v24
	v_add_f32_e32 v24, v31, v28
	v_dual_sub_f32 v28, v28, v31 :: v_dual_add_f32 v31, v6, v4
	v_sub_f32_e32 v4, v4, v6
	v_dual_add_f32 v6, v13, v11 :: v_dual_sub_f32 v11, v11, v13
	v_dual_add_f32 v13, v22, v20 :: v_dual_sub_f32 v20, v20, v22
	;; [unrolled: 1-line block ×4, first 2 shown]
	v_add_f32_e32 v3, v10, v1
	v_sub_f32_e32 v1, v1, v10
	v_add_f32_e32 v10, v19, v18
	v_sub_f32_e32 v18, v18, v19
	v_add_f32_e32 v19, v26, v17
	v_dual_sub_f32 v17, v17, v26 :: v_dual_add_f32 v26, v36, v37
	v_dual_sub_f32 v36, v37, v36 :: v_dual_add_f32 v37, v8, v9
	v_sub_f32_e32 v8, v9, v8
	v_add_f32_e32 v9, v15, v16
	v_sub_f32_e32 v15, v16, v15
	v_add_f32_e32 v16, v24, v25
	;; [unrolled: 2-line block ×3, first 2 shown]
	v_sub_f32_e32 v5, v7, v5
	v_dual_add_f32 v7, v12, v14 :: v_dual_sub_f32 v12, v14, v12
	v_dual_add_f32 v14, v21, v23 :: v_dual_sub_f32 v21, v23, v21
	;; [unrolled: 1-line block ×4, first 2 shown]
	v_add_f32_e32 v31, v3, v6
	v_sub_f32_e32 v3, v6, v3
	v_add_f32_e32 v6, v10, v13
	v_sub_f32_e32 v10, v13, v10
	;; [unrolled: 2-line block ×4, first 2 shown]
	v_dual_add_f32 v4, v1, v11 :: v_dual_sub_f32 v11, v11, v1
	v_dual_add_f32 v1, v18, v20 :: v_dual_sub_f32 v18, v20, v18
	;; [unrolled: 1-line block ×3, first 2 shown]
	v_add_f32_e32 v27, v30, v26
	v_sub_f32_e32 v26, v26, v30
	v_dual_add_f32 v30, v31, v37 :: v_dual_sub_f32 v31, v37, v31
	v_dual_add_f32 v37, v6, v9 :: v_dual_sub_f32 v6, v9, v6
	v_add_f32_e32 v9, v13, v16
	v_sub_f32_e32 v13, v16, v13
	v_add_f32_e32 v16, v22, v25
	v_dual_sub_f32 v22, v25, v22 :: v_dual_add_f32 v25, v4, v7
	v_dual_add_f32 v38, v1, v14 :: v_dual_sub_f32 v7, v7, v4
	v_mbcnt_lo_u32_b32 v4, -1, 0
	v_dual_sub_f32 v14, v14, v1 :: v_dual_add_f32 v39, v20, v23
	v_sub_f32_e32 v20, v23, v20
	v_add_f32_e32 v23, v29, v36
	s_delay_alu instid0(VALU_DEP_4) | instskip(SKIP_3) | instid1(VALU_DEP_4)
	v_xor_b32_e32 v1, 1, v4
	v_dual_sub_f32 v29, v36, v29 :: v_dual_add_f32 v36, v3, v8
	v_sub_f32_e32 v3, v8, v3
	v_add_f32_e32 v8, v10, v15
	v_cmp_gt_i32_e64 s5, 32, v1
	v_sub_f32_e32 v10, v15, v10
	v_add_f32_e32 v15, v19, v24
	v_dual_sub_f32 v19, v24, v19 :: v_dual_add_f32 v24, v2, v5
	s_delay_alu instid0(VALU_DEP_4) | instskip(SKIP_2) | instid1(VALU_DEP_3)
	v_cndmask_b32_e64 v1, v4, v1, s5
	v_dual_sub_f32 v2, v5, v2 :: v_dual_add_f32 v5, v11, v12
	v_dual_sub_f32 v11, v12, v11 :: v_dual_and_b32 v12, 1, v0
	v_lshlrev_b32_e32 v1, 2, v1
	v_add_f32_e32 v45, v18, v21
	s_barrier
	s_delay_alu instid0(VALU_DEP_3)
	v_cmp_eq_u32_e64 s5, 0, v12
	v_sub_f32_e32 v12, v21, v18
	v_add_f32_e32 v18, v17, v28
	ds_bpermute_b32 v40, v1, v27
	ds_bpermute_b32 v42, v1, v23
	v_cndmask_b32_e64 v21, -v27, v27, s5
	ds_bpermute_b32 v27, v1, v22
	ds_bpermute_b32 v46, v1, v2
	v_cndmask_b32_e64 v22, -v22, v22, s5
	v_sub_f32_e32 v17, v28, v17
	ds_bpermute_b32 v28, v1, v29
	v_cndmask_b32_e64 v23, -v23, v23, s5
	ds_bpermute_b32 v47, v1, v30
	v_cndmask_b32_e64 v29, -v29, v29, s5
	v_cndmask_b32_e64 v2, -v2, v2, s5
	ds_bpermute_b32 v44, v1, v26
	ds_bpermute_b32 v41, v1, v16
	;; [unrolled: 1-line block ×4, first 2 shown]
	v_cndmask_b32_e64 v30, -v30, v30, s5
	v_cndmask_b32_e64 v26, -v26, v26, s5
	;; [unrolled: 1-line block ×4, first 2 shown]
	s_waitcnt lgkmcnt(9)
	v_add_f32_e32 v21, v21, v40
	ds_bpermute_b32 v40, v1, v36
	v_cndmask_b32_e64 v25, -v25, v25, s5
	s_waitcnt lgkmcnt(8)
	v_add_f32_e32 v22, v22, v27
	s_waitcnt lgkmcnt(0)
	buffer_gl0_inv
	v_dual_add_f32 v27, v29, v28 :: v_dual_add_f32 v28, v2, v46
	v_cndmask_b32_e64 v2, -v36, v36, s5
	v_add_f32_e32 v23, v23, v42
	ds_bpermute_b32 v42, v1, v31
	ds_bpermute_b32 v46, v1, v38
	v_add_f32_e32 v29, v30, v47
	v_cndmask_b32_e64 v30, -v31, v31, s5
	v_add_f32_e32 v26, v26, v44
	ds_bpermute_b32 v44, v1, v3
	ds_bpermute_b32 v31, v1, v11
	v_add_f32_e32 v16, v16, v41
	v_add_f32_e32 v24, v24, v43
	ds_bpermute_b32 v41, v1, v5
	ds_bpermute_b32 v43, v1, v7
	;; [unrolled: 1-line block ×4, first 2 shown]
	v_add_f32_e32 v40, v2, v40
	v_cndmask_b32_e64 v2, -v11, v11, s5
	v_cndmask_b32_e64 v11, -v37, v37, s5
	;; [unrolled: 1-line block ×3, first 2 shown]
	ds_bpermute_b32 v38, v1, v6
	v_cndmask_b32_e64 v8, -v8, v8, s5
	s_waitcnt lgkmcnt(8)
	v_dual_add_f32 v25, v25, v48 :: v_dual_add_f32 v30, v30, v42
	ds_bpermute_b32 v42, v1, v10
	ds_bpermute_b32 v48, v1, v45
	v_cndmask_b32_e64 v3, -v3, v3, s5
	v_cndmask_b32_e64 v10, -v10, v10, s5
	;; [unrolled: 1-line block ×5, first 2 shown]
	s_waitcnt lgkmcnt(8)
	v_add_f32_e32 v3, v3, v44
	ds_bpermute_b32 v44, v1, v9
	v_cndmask_b32_e64 v9, -v9, v9, s5
	s_waitcnt lgkmcnt(4)
	v_add_f32_e32 v8, v8, v47
	s_waitcnt lgkmcnt(2)
	v_add_f32_e32 v10, v10, v42
	ds_bpermute_b32 v42, v1, v20
	v_cndmask_b32_e64 v20, -v20, v20, s5
	v_add_f32_e32 v31, v2, v31
	v_cndmask_b32_e64 v2, -v6, v6, s5
	v_add_f32_e32 v5, v5, v41
	ds_bpermute_b32 v41, v1, v14
	v_cndmask_b32_e64 v6, -v14, v14, s5
	v_add_f32_e32 v7, v7, v43
	ds_bpermute_b32 v43, v1, v12
	ds_bpermute_b32 v14, v1, v39
	v_cndmask_b32_e64 v12, -v12, v12, s5
	v_dual_add_f32 v11, v11, v36 :: v_dual_add_f32 v36, v37, v46
	v_add_f32_e32 v38, v2, v38
	v_cndmask_b32_e64 v2, -v39, v39, s5
	s_waitcnt lgkmcnt(5)
	v_add_f32_e32 v37, v45, v48
	ds_bpermute_b32 v45, v1, v15
	ds_bpermute_b32 v46, v1, v18
	v_xor_b32_e32 v39, 2, v4
	v_cndmask_b32_e64 v15, -v15, v15, s5
	v_cndmask_b32_e64 v18, -v18, v18, s5
	s_waitcnt lgkmcnt(6)
	v_add_f32_e32 v9, v9, v44
	ds_bpermute_b32 v44, v1, v17
	v_cmp_gt_i32_e64 s6, 32, v39
	v_cndmask_b32_e64 v17, -v17, v17, s5
	s_waitcnt lgkmcnt(5)
	v_add_f32_e32 v6, v6, v41
	ds_bpermute_b32 v41, v1, v13
	v_cndmask_b32_e64 v13, -v13, v13, s5
	v_cndmask_b32_e64 v39, v4, v39, s6
	s_waitcnt lgkmcnt(4)
	v_add_f32_e32 v14, v2, v14
	v_add_f32_e32 v12, v12, v43
	ds_bpermute_b32 v43, v1, v19
	v_cndmask_b32_e64 v19, -v19, v19, s5
	v_lshlrev_b32_e32 v2, 2, v39
	s_waitcnt lgkmcnt(4)
	v_dual_add_f32 v20, v20, v42 :: v_dual_add_f32 v15, v15, v45
	s_waitcnt lgkmcnt(3)
	v_add_f32_e32 v18, v18, v46
	ds_bpermute_b32 v46, v2, v16
	v_and_b32_e32 v39, 2, v0
	ds_bpermute_b32 v45, v2, v21
	ds_bpermute_b32 v47, v2, v23
	;; [unrolled: 1-line block ×4, first 2 shown]
	v_cmp_eq_u32_e64 s6, 0, v39
	ds_bpermute_b32 v39, v2, v22
	ds_bpermute_b32 v42, v2, v28
	v_cndmask_b32_e64 v16, -v16, v16, s6
	v_cndmask_b32_e64 v21, -v21, v21, s6
	;; [unrolled: 1-line block ×4, first 2 shown]
	s_waitcnt lgkmcnt(7)
	v_add_f32_e32 v19, v19, v43
	v_cndmask_b32_e64 v24, -v24, v24, s6
	v_add_f32_e32 v13, v13, v41
	ds_bpermute_b32 v41, v2, v27
	ds_bpermute_b32 v43, v2, v29
	s_waitcnt lgkmcnt(8)
	v_add_f32_e32 v16, v16, v46
	ds_bpermute_b32 v46, v2, v5
	v_cndmask_b32_e64 v5, -v5, v5, s6
	v_cndmask_b32_e64 v22, -v22, v22, s6
	v_add_f32_e32 v17, v17, v44
	ds_bpermute_b32 v44, v2, v25
	s_waitcnt lgkmcnt(7)
	v_add_f32_e32 v26, v26, v49
	v_cndmask_b32_e64 v28, -v28, v28, s6
	s_waitcnt lgkmcnt(5)
	v_dual_add_f32 v22, v22, v39 :: v_dual_add_f32 v21, v21, v45
	ds_bpermute_b32 v45, v2, v40
	ds_bpermute_b32 v49, v2, v3
	s_waitcnt lgkmcnt(6)
	v_add_f32_e32 v28, v28, v42
	v_cndmask_b32_e64 v27, -v27, v27, s6
	v_cndmask_b32_e64 v29, -v29, v29, s6
	;; [unrolled: 1-line block ×5, first 2 shown]
	ds_bpermute_b32 v40, v2, v31
	ds_bpermute_b32 v42, v2, v36
	s_waitcnt lgkmcnt(5)
	v_dual_add_f32 v24, v24, v48 :: v_dual_add_f32 v5, v5, v46
	ds_bpermute_b32 v46, v2, v6
	v_cndmask_b32_e64 v6, -v6, v6, s6
	v_add_f32_e32 v23, v23, v47
	ds_bpermute_b32 v47, v2, v30
	v_cndmask_b32_e64 v30, -v30, v30, s6
	v_add_f32_e32 v27, v27, v41
	ds_bpermute_b32 v41, v2, v11
	ds_bpermute_b32 v48, v2, v7
	v_cndmask_b32_e64 v11, -v11, v11, s6
	v_cndmask_b32_e64 v7, -v7, v7, s6
	s_waitcnt lgkmcnt(3)
	v_add_f32_e32 v6, v6, v46
	ds_bpermute_b32 v46, v2, v19
	v_cndmask_b32_e64 v19, -v19, v19, s6
	s_waitcnt lgkmcnt(3)
	v_add_f32_e32 v30, v30, v47
	ds_bpermute_b32 v47, v2, v10
	v_cndmask_b32_e64 v10, -v10, v10, s6
	v_add_f32_e32 v39, v39, v45
	v_add_f32_e32 v45, v3, v49
	v_cndmask_b32_e64 v3, -v31, v31, s6
	v_add_f32_e32 v29, v29, v43
	ds_bpermute_b32 v43, v2, v8
	v_cndmask_b32_e64 v31, -v36, v36, s6
	ds_bpermute_b32 v36, v2, v38
	v_add_f32_e32 v40, v3, v40
	v_cndmask_b32_e64 v8, -v8, v8, s6
	v_add_f32_e32 v25, v25, v44
	ds_bpermute_b32 v44, v2, v37
	v_cndmask_b32_e64 v37, -v37, v37, s6
	v_cndmask_b32_e64 v3, -v38, v38, s6
	ds_bpermute_b32 v38, v2, v14
	s_waitcnt lgkmcnt(7)
	v_add_f32_e32 v11, v11, v41
	ds_bpermute_b32 v41, v2, v15
	ds_bpermute_b32 v49, v2, v9
	v_cndmask_b32_e64 v9, -v9, v9, s6
	s_waitcnt lgkmcnt(6)
	v_add_f32_e32 v10, v10, v47
	ds_bpermute_b32 v47, v2, v17
	v_cndmask_b32_e64 v17, -v17, v17, s6
	s_waitcnt lgkmcnt(6)
	v_add_f32_e32 v8, v8, v43
	ds_bpermute_b32 v43, v2, v13
	s_waitcnt lgkmcnt(6)
	v_add_f32_e32 v36, v3, v36
	v_cndmask_b32_e64 v3, -v14, v14, s6
	v_cndmask_b32_e64 v14, -v15, v15, s6
	v_cndmask_b32_e64 v15, -v18, v18, s6
	s_waitcnt lgkmcnt(5)
	v_add_f32_e32 v37, v37, v44
	ds_bpermute_b32 v44, v2, v20
	v_add_f32_e32 v31, v31, v42
	ds_bpermute_b32 v42, v2, v18
	v_xor_b32_e32 v18, 4, v4
	s_waitcnt lgkmcnt(5)
	v_dual_add_f32 v7, v7, v48 :: v_dual_add_f32 v14, v14, v41
	ds_bpermute_b32 v48, v2, v12
	v_add_f32_e32 v38, v3, v38
	v_cmp_gt_i32_e64 s7, 32, v18
	v_cndmask_b32_e64 v12, -v12, v12, s6
	v_cndmask_b32_e64 v13, -v13, v13, s6
	s_delay_alu instid0(VALU_DEP_3) | instskip(NEXT) | instid1(VALU_DEP_1)
	v_cndmask_b32_e64 v18, v4, v18, s7
	v_lshlrev_b32_e32 v3, 2, v18
	v_cndmask_b32_e64 v18, -v20, v20, s6
	v_and_b32_e32 v20, 4, v0
	ds_bpermute_b32 v41, v3, v21
	ds_bpermute_b32 v50, v3, v26
	v_cmp_eq_u32_e64 s7, 0, v20
	s_waitcnt lgkmcnt(2)
	v_add_f32_e32 v12, v12, v48
	ds_bpermute_b32 v48, v3, v23
	v_add_f32_e32 v18, v18, v44
	v_cndmask_b32_e64 v20, -v21, v21, s7
	v_add_f32_e32 v15, v15, v42
	ds_bpermute_b32 v42, v3, v16
	v_cndmask_b32_e64 v16, -v16, v16, s7
	v_add_f32_e32 v9, v9, v49
	ds_bpermute_b32 v49, v3, v24
	v_cndmask_b32_e64 v21, -v23, v23, s7
	v_cndmask_b32_e64 v23, -v24, v24, s7
	;; [unrolled: 1-line block ×3, first 2 shown]
	v_add_f32_e32 v13, v13, v43
	ds_bpermute_b32 v26, v3, v22
	ds_bpermute_b32 v43, v3, v27
	v_cndmask_b32_e64 v22, -v22, v22, s7
	v_cndmask_b32_e64 v27, -v27, v27, s7
	s_waitcnt lgkmcnt(5)
	v_dual_add_f32 v24, v24, v50 :: v_dual_add_f32 v17, v17, v47
	v_add_f32_e32 v20, v20, v41
	s_waitcnt lgkmcnt(3)
	v_add_f32_e32 v16, v16, v42
	s_waitcnt lgkmcnt(1)
	;; [unrolled: 2-line block ×3, first 2 shown]
	v_add_f32_e32 v26, v27, v43
	ds_bpermute_b32 v44, v3, v28
	ds_bpermute_b32 v42, v3, v5
	;; [unrolled: 1-line block ×3, first 2 shown]
	v_cndmask_b32_e64 v40, -v40, v40, s7
	v_add_f32_e32 v21, v21, v48
	ds_bpermute_b32 v48, v3, v30
	v_cndmask_b32_e64 v30, -v30, v30, s7
	v_add_f32_e32 v19, v19, v46
	ds_bpermute_b32 v46, v3, v29
	ds_bpermute_b32 v41, v3, v39
	v_cndmask_b32_e64 v28, -v28, v28, s7
	v_cndmask_b32_e64 v29, -v29, v29, s7
	;; [unrolled: 1-line block ×3, first 2 shown]
	v_add_f32_e32 v23, v23, v49
	ds_bpermute_b32 v47, v3, v25
	ds_bpermute_b32 v50, v3, v45
	;; [unrolled: 1-line block ×3, first 2 shown]
	v_cndmask_b32_e64 v25, -v25, v25, s7
	v_cndmask_b32_e64 v7, -v7, v7, s7
	s_waitcnt lgkmcnt(7)
	v_add_f32_e32 v5, v5, v42
	ds_bpermute_b32 v42, v3, v6
	v_cndmask_b32_e64 v6, -v6, v6, s7
	v_add_f32_e32 v27, v28, v44
	s_waitcnt lgkmcnt(6)
	v_add_f32_e32 v30, v30, v48
	ds_bpermute_b32 v48, v3, v10
	v_cndmask_b32_e64 v10, -v10, v10, s7
	s_waitcnt lgkmcnt(6)
	v_add_f32_e32 v28, v29, v46
	v_cndmask_b32_e64 v29, -v39, v39, s7
	v_cndmask_b32_e64 v39, -v45, v45, s7
	ds_bpermute_b32 v44, v3, v11
	ds_bpermute_b32 v45, v3, v31
	;; [unrolled: 1-line block ×3, first 2 shown]
	s_waitcnt lgkmcnt(8)
	v_add_f32_e32 v29, v29, v41
	ds_bpermute_b32 v41, v3, v36
	v_cndmask_b32_e64 v36, -v36, v36, s7
	v_add_f32_e32 v40, v40, v43
	ds_bpermute_b32 v43, v3, v38
	v_cndmask_b32_e64 v11, -v11, v11, s7
	v_cndmask_b32_e64 v31, -v31, v31, s7
	;; [unrolled: 1-line block ×3, first 2 shown]
	s_waitcnt lgkmcnt(6)
	v_add_f32_e32 v6, v6, v42
	ds_bpermute_b32 v42, v3, v13
	v_cndmask_b32_e64 v13, -v13, v13, s7
	v_add_f32_e32 v25, v25, v47
	v_cndmask_b32_e64 v38, -v38, v38, s7
	v_add_f32_e32 v7, v7, v49
	ds_bpermute_b32 v47, v3, v37
	ds_bpermute_b32 v49, v3, v12
	v_cndmask_b32_e64 v12, -v12, v12, s7
	v_add_f32_e32 v39, v39, v50
	ds_bpermute_b32 v50, v3, v9
	s_waitcnt lgkmcnt(6)
	v_add_f32_e32 v8, v8, v46
	ds_bpermute_b32 v46, v3, v18
	s_waitcnt lgkmcnt(6)
	v_add_f32_e32 v36, v36, v41
	v_xor_b32_e32 v41, 8, v4
	v_cndmask_b32_e64 v18, -v18, v18, s7
	v_add_f32_e32 v11, v11, v44
	ds_bpermute_b32 v44, v3, v14
	v_cndmask_b32_e64 v14, -v14, v14, s7
	v_cmp_gt_i32_e64 s8, 32, v41
	v_add_f32_e32 v31, v31, v45
	ds_bpermute_b32 v45, v3, v15
	s_waitcnt lgkmcnt(6)
	v_dual_add_f32 v13, v13, v42 :: v_dual_add_f32 v38, v38, v43
	v_cndmask_b32_e64 v41, v4, v41, s8
	v_and_b32_e32 v43, 8, v0
	v_cndmask_b32_e64 v15, -v15, v15, s7
	v_cndmask_b32_e64 v37, -v37, v37, s7
	;; [unrolled: 1-line block ×3, first 2 shown]
	v_lshlrev_b32_e32 v41, 2, v41
	v_cmp_eq_u32_e64 s8, 0, v43
	v_add_f32_e32 v10, v10, v48
	s_waitcnt lgkmcnt(4)
	v_add_f32_e32 v12, v12, v49
	s_waitcnt lgkmcnt(2)
	v_add_f32_e32 v18, v18, v46
	ds_bpermute_b32 v42, v41, v22
	v_cndmask_b32_e64 v22, -v22, v22, s8
	ds_bpermute_b32 v48, v3, v17
	s_waitcnt lgkmcnt(3)
	v_add_f32_e32 v14, v14, v44
	v_cndmask_b32_e64 v17, -v17, v17, s7
	s_waitcnt lgkmcnt(1)
	v_add_f32_e32 v22, v22, v42
	ds_bpermute_b32 v44, v41, v20
	ds_bpermute_b32 v51, v41, v24
	v_cndmask_b32_e64 v24, -v24, v24, s8
	v_add_f32_e32 v15, v15, v45
	ds_bpermute_b32 v45, v41, v16
	v_cndmask_b32_e64 v20, -v20, v20, s8
	v_cndmask_b32_e64 v16, -v16, v16, s8
	v_add_f32_e32 v37, v37, v47
	v_add_f32_e32 v9, v9, v50
	ds_bpermute_b32 v47, v3, v19
	ds_bpermute_b32 v50, v41, v23
	v_cndmask_b32_e64 v19, -v19, v19, s7
	v_cndmask_b32_e64 v23, -v23, v23, s8
	ds_bpermute_b32 v49, v41, v21
	ds_bpermute_b32 v43, v41, v26
	;; [unrolled: 1-line block ×4, first 2 shown]
	v_cndmask_b32_e64 v21, -v21, v21, s8
	v_cndmask_b32_e64 v26, -v26, v26, s8
	v_cndmask_b32_e64 v27, -v27, v27, s8
	s_waitcnt lgkmcnt(8)
	v_add_f32_e32 v20, v20, v44
	ds_bpermute_b32 v44, v41, v29
	v_cndmask_b32_e64 v29, -v29, v29, s8
	s_waitcnt lgkmcnt(8)
	v_add_f32_e32 v24, v24, v51
	s_waitcnt lgkmcnt(7)
	v_add_f32_e32 v16, v16, v45
	ds_bpermute_b32 v45, v41, v5
	v_cndmask_b32_e64 v5, -v5, v5, s8
	ds_bpermute_b32 v51, v41, v39
	v_cndmask_b32_e64 v39, -v39, v39, s8
	s_waitcnt lgkmcnt(8)
	v_add_f32_e32 v19, v19, v47
	ds_bpermute_b32 v47, v41, v28
	v_cndmask_b32_e64 v28, -v28, v28, s8
	s_waitcnt lgkmcnt(5)
	v_dual_add_f32 v26, v26, v43 :: v_dual_add_f32 v27, v27, v46
	ds_bpermute_b32 v43, v41, v11
	ds_bpermute_b32 v46, v41, v31
	s_waitcnt lgkmcnt(5)
	v_add_f32_e32 v29, v29, v44
	s_waitcnt lgkmcnt(4)
	v_add_f32_e32 v44, v5, v45
	v_cndmask_b32_e64 v5, -v40, v40, s8
	ds_bpermute_b32 v40, v41, v6
	v_cndmask_b32_e64 v6, -v6, v6, s8
	v_add_f32_e32 v23, v23, v50
	ds_bpermute_b32 v50, v41, v7
	v_cndmask_b32_e64 v7, -v7, v7, s8
	s_waitcnt lgkmcnt(5)
	v_dual_add_f32 v39, v39, v51 :: v_dual_add_f32 v42, v5, v42
	ds_bpermute_b32 v51, v41, v9
	v_cndmask_b32_e64 v5, -v36, v36, s8
	v_cndmask_b32_e64 v9, -v9, v9, s8
	s_waitcnt lgkmcnt(5)
	v_add_f32_e32 v28, v28, v47
	ds_bpermute_b32 v47, v41, v8
	v_cndmask_b32_e64 v8, -v8, v8, s8
	s_waitcnt lgkmcnt(2)
	v_add_f32_e32 v45, v7, v50
	v_cndmask_b32_e64 v7, -v11, v11, s8
	v_cndmask_b32_e64 v11, -v31, v31, s8
	v_add_f32_e32 v21, v21, v49
	ds_bpermute_b32 v49, v41, v30
	v_cndmask_b32_e64 v30, -v30, v30, s8
	v_add_f32_e32 v17, v17, v48
	ds_bpermute_b32 v48, v41, v25
	v_cndmask_b32_e64 v25, -v25, v25, s8
	ds_bpermute_b32 v31, v41, v36
	v_add_f32_e32 v36, v6, v40
	v_cndmask_b32_e64 v6, -v14, v14, s8
	v_add_f32_e32 v43, v7, v43
	v_cndmask_b32_e64 v7, -v10, v10, s8
	v_add_f32_e32 v46, v11, v46
	ds_bpermute_b32 v11, v41, v15
	ds_bpermute_b32 v50, v41, v12
	v_cndmask_b32_e64 v12, -v12, v12, s8
	s_waitcnt lgkmcnt(4)
	v_add_f32_e32 v30, v30, v49
	ds_bpermute_b32 v49, v41, v10
	ds_bpermute_b32 v10, v41, v14
	s_waitcnt lgkmcnt(5)
	v_add_f32_e32 v25, v25, v48
	ds_bpermute_b32 v48, v41, v37
	ds_bpermute_b32 v14, v41, v18
	v_cndmask_b32_e64 v37, -v37, v37, s8
	s_waitcnt lgkmcnt(3)
	v_dual_add_f32 v40, v7, v49 :: v_dual_add_f32 v49, v9, v51
	v_xor_b32_e32 v9, 16, v4
	v_cndmask_b32_e64 v7, -v15, v15, s8
	ds_bpermute_b32 v15, v41, v19
	v_cmp_gt_i32_e64 s9, 32, v9
	s_delay_alu instid0(VALU_DEP_1) | instskip(NEXT) | instid1(VALU_DEP_1)
	v_cndmask_b32_e64 v4, v4, v9, s9
	v_lshlrev_b32_e32 v52, 2, v4
	v_cndmask_b32_e64 v4, -v18, v18, s8
	s_waitcnt lgkmcnt(2)
	v_dual_add_f32 v37, v37, v48 :: v_dual_add_f32 v48, v12, v50
	ds_bpermute_b32 v12, v41, v13
	ds_bpermute_b32 v9, v52, v20
	s_waitcnt lgkmcnt(3)
	v_add_f32_e32 v54, v4, v14
	ds_bpermute_b32 v14, v52, v26
	v_add_f32_e32 v51, v7, v11
	v_cndmask_b32_e64 v7, -v17, v17, s8
	v_add_f32_e32 v47, v8, v47
	ds_bpermute_b32 v8, v41, v38
	v_add_f32_e32 v31, v5, v31
	v_cndmask_b32_e64 v5, -v38, v38, s8
	ds_bpermute_b32 v38, v41, v17
	ds_bpermute_b32 v11, v52, v21
	v_add_f32_e32 v50, v6, v10
	v_cndmask_b32_e64 v6, -v19, v19, s8
	ds_bpermute_b32 v10, v52, v16
	ds_bpermute_b32 v19, v52, v29
	ds_bpermute_b32 v17, v52, v24
	ds_bpermute_b32 v18, v52, v25
	s_waitcnt lgkmcnt(6)
	v_add_f32_e32 v41, v5, v8
	v_cndmask_b32_e64 v5, -v13, v13, s8
	ds_bpermute_b32 v13, v52, v23
	v_and_b32_e32 v8, 16, v0
	s_waitcnt lgkmcnt(6)
	v_add_f32_e32 v56, v7, v38
	ds_bpermute_b32 v38, v52, v40
	v_add_f32_e32 v53, v5, v12
	ds_bpermute_b32 v12, v52, v22
	v_cmp_eq_u32_e64 s8, 0, v8
	s_delay_alu instid0(VALU_DEP_1)
	v_cndmask_b32_e64 v7, -v23, v23, s8
	v_cndmask_b32_e64 v5, -v16, v16, s8
	ds_bpermute_b32 v16, v52, v28
	ds_bpermute_b32 v23, v52, v39
	v_cndmask_b32_e64 v4, -v20, v20, s8
	ds_bpermute_b32 v20, v52, v44
	v_cndmask_b32_e64 v8, -v24, v24, s8
	ds_bpermute_b32 v24, v52, v42
	s_waitcnt lgkmcnt(6)
	v_add_f32_e32 v7, v7, v13
	v_cndmask_b32_e64 v13, -v28, v28, s8
	v_add_f32_e32 v55, v6, v15
	ds_bpermute_b32 v15, v52, v27
	v_cndmask_b32_e64 v6, -v21, v21, s8
	v_add_f32_e32 v4, v4, v9
	v_cndmask_b32_e64 v9, -v22, v22, s8
	v_add_f32_e32 v8, v8, v17
	;; [unrolled: 2-line block ×3, first 2 shown]
	v_cndmask_b32_e64 v11, -v27, v27, s8
	ds_bpermute_b32 v21, v52, v30
	ds_bpermute_b32 v25, v52, v43
	;; [unrolled: 1-line block ×5, first 2 shown]
	s_waitcnt lgkmcnt(5)
	v_add_f32_e32 v11, v11, v15
	v_cndmask_b32_e64 v15, -v44, v44, s8
	ds_bpermute_b32 v44, v52, v56
	v_add_f32_e32 v15, v15, v20
	v_cndmask_b32_e64 v20, -v43, v43, s8
	v_add_f32_e32 v9, v9, v12
	v_add_f32_e32 v12, v13, v16
	v_cndmask_b32_e64 v16, -v30, v30, s8
	v_add_f32_e32 v5, v5, v10
	v_cndmask_b32_e64 v10, -v26, v26, s8
	;; [unrolled: 2-line block ×3, first 2 shown]
	ds_bpermute_b32 v39, v52, v49
	ds_bpermute_b32 v26, v52, v46
	v_add_f32_e32 v10, v10, v14
	v_cndmask_b32_e64 v14, -v29, v29, s8
	ds_bpermute_b32 v29, v52, v31
	v_add_f32_e32 v18, v18, v23
	v_cndmask_b32_e64 v23, -v37, v37, s8
	;; [unrolled: 3-line block ×3, first 2 shown]
	s_waitcnt lgkmcnt(8)
	v_add_f32_e32 v20, v20, v25
	ds_bpermute_b32 v37, v52, v48
	v_cndmask_b32_e64 v25, -v36, v36, s8
	v_cndmask_b32_e64 v17, -v45, v45, s8
	v_add_f32_e32 v19, v19, v24
	v_cndmask_b32_e64 v24, -v31, v31, s8
	ds_bpermute_b32 v31, v52, v50
	v_add_f32_e32 v16, v16, v21
	v_cndmask_b32_e64 v21, -v46, v46, s8
	ds_bpermute_b32 v42, v52, v51
	ds_bpermute_b32 v43, v52, v54
	v_and_b32_e32 v45, 7, v0
	s_waitcnt lgkmcnt(5)
	v_dual_add_f32 v21, v21, v26 :: v_dual_add_f32 v24, v24, v29
	v_cndmask_b32_e64 v29, -v49, v49, s8
	v_cndmask_b32_e64 v26, -v40, v40, s8
	ds_bpermute_b32 v40, v52, v53
	v_add_f32_e32 v17, v17, v22
	v_cndmask_b32_e64 v22, -v47, v47, s8
	v_add_f32_e32 v36, v29, v39
	v_cndmask_b32_e64 v29, -v50, v50, s8
	v_add_f32_e32 v23, v23, v28
	ds_bpermute_b32 v28, v52, v41
	v_add_f32_e32 v22, v22, v27
	v_add_f32_e32 v26, v26, v38
	v_cndmask_b32_e64 v27, -v48, v48, s8
	v_cndmask_b32_e64 v38, -v41, v41, s8
	s_waitcnt lgkmcnt(6)
	v_add_f32_e32 v25, v25, v30
	ds_bpermute_b32 v30, v52, v55
	v_cndmask_b32_e64 v39, -v51, v51, s8
	s_waitcnt lgkmcnt(6)
	v_add_f32_e32 v27, v27, v37
	v_cndmask_b32_e64 v41, -v54, v54, s8
	s_waitcnt lgkmcnt(4)
	v_add_f32_e32 v39, v39, v42
	s_waitcnt lgkmcnt(3)
	s_delay_alu instid0(VALU_DEP_2)
	v_add_f32_e32 v41, v41, v43
	s_waitcnt lgkmcnt(1)
	v_dual_add_f32 v37, v38, v28 :: v_dual_add_f32 v38, v29, v31
	v_lshrrev_b32_e32 v29, 5, v0
	v_cndmask_b32_e64 v28, -v53, v53, s8
	v_cndmask_b32_e64 v31, -v56, v56, s8
	s_delay_alu instid0(VALU_DEP_3) | instskip(SKIP_1) | instid1(VALU_DEP_4)
	v_xor_b32_e32 v29, v29, v0
	v_lshrrev_b32_e32 v0, 3, v0
	v_add_f32_e32 v40, v28, v40
	v_cndmask_b32_e64 v28, -v55, v55, s8
	v_add_f32_e32 v43, v31, v44
	s_delay_alu instid0(VALU_DEP_4) | instskip(SKIP_1) | instid1(VALU_DEP_3)
	v_lshl_or_b32 v0, v45, 5, v0
	s_waitcnt lgkmcnt(0)
	v_add_f32_e32 v42, v28, v30
	v_lshl_add_u32 v28, v29, 4, 0
	ds_store_b128 v28, v[4:7]
	ds_store_b128 v28, v[8:11] offset:4096
	v_xor_b32_e32 v0, v0, v45
	ds_store_b128 v28, v[12:15] offset:8192
	ds_store_b128 v28, v[16:19] offset:12288
	ds_store_b128 v28, v[20:23] offset:16384
	ds_store_b128 v28, v[24:27] offset:20480
	ds_store_b128 v28, v[36:39] offset:24576
	ds_store_b128 v28, v[40:43] offset:28672
	s_waitcnt lgkmcnt(0)
	s_barrier
	v_lshl_add_u32 v0, v0, 4, 0
	buffer_gl0_inv
	ds_load_b128 v[4:7], v0
	ds_load_b128 v[8:11], v0 offset:4096
	ds_load_b128 v[12:15], v0 offset:8192
	;; [unrolled: 1-line block ×7, first 2 shown]
	s_waitcnt lgkmcnt(0)
	s_barrier
	buffer_gl0_inv
	ds_bpermute_b32 v29, v1, v4
	v_cndmask_b32_e64 v4, -v4, v4, s5
	ds_bpermute_b32 v31, v1, v6
	ds_bpermute_b32 v44, v1, v7
	;; [unrolled: 1-line block ×5, first 2 shown]
	v_cndmask_b32_e64 v6, -v6, v6, s5
	v_cndmask_b32_e64 v7, -v7, v7, s5
	;; [unrolled: 1-line block ×5, first 2 shown]
	ds_bpermute_b32 v30, v1, v5
	ds_bpermute_b32 v47, v1, v11
	;; [unrolled: 1-line block ×4, first 2 shown]
	v_cndmask_b32_e64 v5, -v5, v5, s5
	v_cndmask_b32_e64 v11, -v11, v11, s5
	;; [unrolled: 1-line block ×4, first 2 shown]
	s_waitcnt lgkmcnt(9)
	v_add_f32_e32 v4, v4, v29
	ds_bpermute_b32 v29, v1, v10
	v_cndmask_b32_e64 v10, -v10, v10, s5
	s_waitcnt lgkmcnt(9)
	v_add_f32_e32 v6, v6, v31
	s_waitcnt lgkmcnt(7)
	v_add_f32_e32 v8, v8, v45
	ds_bpermute_b32 v31, v1, v16
	ds_bpermute_b32 v45, v1, v18
	s_waitcnt lgkmcnt(7)
	v_add_f32_e32 v12, v12, v48
	ds_bpermute_b32 v48, v1, v22
	v_cndmask_b32_e64 v22, -v22, v22, s5
	v_add_f32_e32 v9, v9, v46
	ds_bpermute_b32 v46, v1, v19
	v_cndmask_b32_e64 v16, -v16, v16, s5
	v_cndmask_b32_e64 v18, -v18, v18, s5
	;; [unrolled: 1-line block ×3, first 2 shown]
	s_waitcnt lgkmcnt(8)
	v_add_f32_e32 v5, v5, v30
	ds_bpermute_b32 v30, v1, v15
	s_waitcnt lgkmcnt(6)
	v_add_f32_e32 v14, v14, v50
	ds_bpermute_b32 v50, v1, v24
	v_cndmask_b32_e64 v24, -v24, v24, s5
	s_waitcnt lgkmcnt(6)
	v_dual_add_f32 v11, v11, v47 :: v_dual_add_f32 v10, v10, v29
	ds_bpermute_b32 v29, v1, v20
	v_cndmask_b32_e64 v20, -v20, v20, s5
	v_add_f32_e32 v7, v7, v44
	ds_bpermute_b32 v44, v1, v17
	v_cndmask_b32_e64 v17, -v17, v17, s5
	ds_bpermute_b32 v47, v1, v21
	s_waitcnt lgkmcnt(8)
	v_add_f32_e32 v16, v16, v31
	s_waitcnt lgkmcnt(7)
	v_add_f32_e32 v18, v18, v45
	ds_bpermute_b32 v31, v1, v26
	s_waitcnt lgkmcnt(6)
	v_add_f32_e32 v19, v19, v46
	ds_bpermute_b32 v45, v1, v36
	ds_bpermute_b32 v46, v1, v37
	v_cndmask_b32_e64 v26, -v26, v26, s5
	v_add_f32_e32 v13, v13, v49
	ds_bpermute_b32 v49, v1, v23
	v_cndmask_b32_e64 v15, -v15, v15, s5
	v_cndmask_b32_e64 v21, -v21, v21, s5
	;; [unrolled: 1-line block ×3, first 2 shown]
	v_add_f32_e32 v22, v22, v48
	s_waitcnt lgkmcnt(7)
	v_add_f32_e32 v24, v24, v50
	s_waitcnt lgkmcnt(6)
	v_add_f32_e32 v20, v20, v29
	v_cndmask_b32_e64 v29, -v36, v36, s5
	v_cndmask_b32_e64 v36, -v37, v37, s5
	s_waitcnt lgkmcnt(5)
	v_add_f32_e32 v17, v17, v44
	ds_bpermute_b32 v44, v1, v27
	v_cndmask_b32_e64 v27, -v27, v27, s5
	ds_bpermute_b32 v37, v1, v38
	ds_bpermute_b32 v48, v1, v40
	;; [unrolled: 1-line block ×3, first 2 shown]
	s_waitcnt lgkmcnt(7)
	v_add_f32_e32 v26, v26, v31
	v_cndmask_b32_e64 v31, -v38, v38, s5
	v_cndmask_b32_e64 v38, -v40, v40, s5
	v_cndmask_b32_e64 v40, -v42, v42, s5
	ds_bpermute_b32 v42, v2, v5
	v_cndmask_b32_e64 v5, -v5, v5, s6
	s_waitcnt lgkmcnt(4)
	v_add_f32_e32 v27, v27, v44
	ds_bpermute_b32 v44, v2, v6
	v_cndmask_b32_e64 v6, -v6, v6, s6
	v_add_f32_e32 v23, v23, v49
	ds_bpermute_b32 v49, v1, v41
	v_add_f32_e32 v21, v21, v47
	ds_bpermute_b32 v47, v1, v39
	;; [unrolled: 2-line block ×3, first 2 shown]
	v_cndmask_b32_e64 v25, -v25, v25, s5
	ds_bpermute_b32 v1, v1, v43
	s_waitcnt lgkmcnt(8)
	v_add_f32_e32 v31, v31, v37
	s_waitcnt lgkmcnt(7)
	v_add_f32_e32 v37, v38, v48
	ds_bpermute_b32 v48, v2, v11
	v_cndmask_b32_e64 v11, -v11, v11, s6
	s_waitcnt lgkmcnt(5)
	v_add_f32_e32 v6, v6, v44
	ds_bpermute_b32 v44, v2, v16
	v_cndmask_b32_e64 v16, -v16, v16, s6
	v_add_f32_e32 v29, v29, v45
	ds_bpermute_b32 v45, v2, v7
	v_cndmask_b32_e64 v7, -v7, v7, s6
	s_waitcnt lgkmcnt(4)
	v_add_f32_e32 v25, v25, v30
	v_add_f32_e32 v30, v36, v46
	v_cndmask_b32_e64 v36, -v39, v39, s5
	v_cndmask_b32_e64 v39, -v41, v41, s5
	ds_bpermute_b32 v41, v2, v4
	v_cndmask_b32_e64 v4, -v4, v4, s6
	ds_bpermute_b32 v46, v2, v9
	v_add_f32_e32 v36, v36, v47
	v_add_f32_e32 v38, v39, v49
	ds_bpermute_b32 v47, v2, v10
	v_cndmask_b32_e64 v10, -v10, v10, s6
	ds_bpermute_b32 v49, v2, v12
	v_cndmask_b32_e64 v9, -v9, v9, s6
	v_cndmask_b32_e64 v12, -v12, v12, s6
	s_waitcnt lgkmcnt(5)
	v_add_f32_e32 v16, v16, v44
	ds_bpermute_b32 v44, v2, v26
	v_cndmask_b32_e64 v26, -v26, v26, s6
	s_waitcnt lgkmcnt(4)
	v_add_f32_e32 v4, v4, v41
	ds_bpermute_b32 v41, v2, v14
	v_cndmask_b32_e64 v14, -v14, v14, s6
	v_add_f32_e32 v39, v40, v50
	v_cndmask_b32_e64 v40, -v43, v43, s5
	ds_bpermute_b32 v43, v2, v8
	v_cndmask_b32_e64 v8, -v8, v8, s6
	s_waitcnt lgkmcnt(4)
	v_add_f32_e32 v10, v10, v47
	ds_bpermute_b32 v47, v2, v20
	v_cndmask_b32_e64 v20, -v20, v20, s6
	v_add_f32_e32 v5, v5, v42
	ds_bpermute_b32 v42, v2, v15
	v_cndmask_b32_e64 v15, -v15, v15, s6
	s_waitcnt lgkmcnt(4)
	v_dual_add_f32 v1, v40, v1 :: v_dual_add_f32 v26, v26, v44
	ds_bpermute_b32 v40, v2, v13
	v_add_f32_e32 v12, v12, v49
	ds_bpermute_b32 v49, v2, v22
	v_cndmask_b32_e64 v22, -v22, v22, s6
	v_add_f32_e32 v9, v9, v46
	ds_bpermute_b32 v46, v2, v19
	s_waitcnt lgkmcnt(6)
	v_add_f32_e32 v14, v14, v41
	ds_bpermute_b32 v41, v2, v24
	v_cndmask_b32_e64 v24, -v24, v24, s6
	s_waitcnt lgkmcnt(6)
	v_dual_add_f32 v11, v11, v48 :: v_dual_add_f32 v8, v8, v43
	ds_bpermute_b32 v43, v2, v18
	ds_bpermute_b32 v48, v2, v21
	v_cndmask_b32_e64 v18, -v18, v18, s6
	v_cndmask_b32_e64 v21, -v21, v21, s6
	s_waitcnt lgkmcnt(7)
	v_add_f32_e32 v20, v20, v47
	ds_bpermute_b32 v44, v3, v5
	v_cndmask_b32_e64 v13, -v13, v13, s6
	v_cndmask_b32_e64 v19, -v19, v19, s6
	;; [unrolled: 1-line block ×3, first 2 shown]
	s_mul_i32 s5, s10, s12
	s_waitcnt lgkmcnt(5)
	v_add_f32_e32 v22, v22, v49
	ds_bpermute_b32 v49, v2, v37
	v_cndmask_b32_e64 v37, -v37, v37, s6
	s_waitcnt lgkmcnt(4)
	v_add_f32_e32 v24, v24, v41
	ds_bpermute_b32 v41, v2, v39
	s_waitcnt lgkmcnt(3)
	v_dual_add_f32 v18, v18, v43 :: v_dual_add_f32 v21, v21, v48
	ds_bpermute_b32 v43, v2, v29
	ds_bpermute_b32 v48, v2, v36
	v_cndmask_b32_e64 v29, -v29, v29, s6
	v_cndmask_b32_e64 v36, -v36, v36, s6
	s_waitcnt lgkmcnt(4)
	v_add_f32_e32 v5, v5, v44
	ds_bpermute_b32 v44, v3, v14
	v_cndmask_b32_e64 v14, -v14, v14, s7
	ds_bpermute_b32 v47, v2, v31
	v_cndmask_b32_e64 v31, -v31, v31, s6
	s_waitcnt lgkmcnt(3)
	v_add_f32_e32 v29, v29, v43
	s_waitcnt lgkmcnt(2)
	v_add_f32_e32 v43, v36, v48
	v_cndmask_b32_e64 v36, -v38, v38, s6
	v_add_f32_e32 v15, v15, v42
	ds_bpermute_b32 v42, v2, v25
	v_cndmask_b32_e64 v25, -v25, v25, s6
	ds_bpermute_b32 v48, v3, v10
	v_cndmask_b32_e64 v10, -v10, v10, s7
	v_add_f32_e32 v19, v19, v46
	ds_bpermute_b32 v46, v2, v30
	v_cndmask_b32_e64 v30, -v30, v30, s6
	v_add_f32_e32 v7, v7, v45
	ds_bpermute_b32 v45, v2, v17
	v_cndmask_b32_e64 v17, -v17, v17, s6
	s_waitcnt lgkmcnt(5)
	v_add_f32_e32 v14, v14, v44
	ds_bpermute_b32 v44, v3, v24
	v_cndmask_b32_e64 v24, -v24, v24, s7
	s_waitcnt lgkmcnt(4)
	v_add_f32_e32 v25, v25, v42
	ds_bpermute_b32 v42, v3, v4
	v_cndmask_b32_e64 v4, -v4, v4, s7
	v_add_f32_e32 v13, v13, v40
	ds_bpermute_b32 v40, v2, v23
	v_cndmask_b32_e64 v23, -v23, v23, s6
	s_waitcnt lgkmcnt(5)
	v_add_f32_e32 v10, v10, v48
	ds_bpermute_b32 v48, v3, v20
	v_cndmask_b32_e64 v20, -v20, v20, s7
	s_waitcnt lgkmcnt(5)
	v_dual_add_f32 v31, v31, v47 :: v_dual_add_f32 v30, v30, v46
	ds_bpermute_b32 v46, v3, v8
	v_cndmask_b32_e64 v8, -v8, v8, s7
	ds_bpermute_b32 v47, v3, v9
	v_cndmask_b32_e64 v9, -v9, v9, s7
	s_waitcnt lgkmcnt(5)
	v_add_f32_e32 v24, v24, v44
	s_waitcnt lgkmcnt(4)
	v_add_f32_e32 v4, v4, v42
	ds_bpermute_b32 v42, v3, v13
	v_cndmask_b32_e64 v13, -v13, v13, s7
	s_waitcnt lgkmcnt(4)
	v_add_f32_e32 v23, v23, v40
	ds_bpermute_b32 v40, v2, v38
	ds_bpermute_b32 v38, v3, v6
	v_add_f32_e32 v17, v17, v45
	ds_bpermute_b32 v45, v2, v27
	ds_bpermute_b32 v2, v2, v1
	v_cndmask_b32_e64 v1, -v1, v1, s6
	s_waitcnt lgkmcnt(7)
	v_add_f32_e32 v20, v20, v48
	ds_bpermute_b32 v48, v3, v31
	v_cndmask_b32_e64 v31, -v31, v31, s7
	v_cndmask_b32_e64 v27, -v27, v27, s6
	s_waitcnt lgkmcnt(7)
	v_add_f32_e32 v8, v8, v46
	ds_bpermute_b32 v46, v3, v18
	v_cndmask_b32_e64 v18, -v18, v18, s7
	s_waitcnt lgkmcnt(5)
	v_dual_add_f32 v13, v13, v42 :: v_dual_add_f32 v40, v36, v40
	ds_bpermute_b32 v36, v3, v11
	s_waitcnt lgkmcnt(3)
	v_add_f32_e32 v1, v1, v2
	v_cndmask_b32_e64 v2, -v6, v6, s7
	ds_bpermute_b32 v44, v3, v40
	v_add_f32_e32 v6, v2, v38
	ds_bpermute_b32 v38, v3, v16
	v_cndmask_b32_e64 v2, -v11, v11, s7
	s_waitcnt lgkmcnt(3)
	v_add_f32_e32 v18, v18, v46
	ds_bpermute_b32 v46, v3, v29
	v_cndmask_b32_e64 v29, -v29, v29, s7
	s_waitcnt lgkmcnt(3)
	v_add_f32_e32 v11, v2, v36
	v_cndmask_b32_e64 v2, -v16, v16, s7
	v_add_f32_e32 v27, v27, v45
	v_add_f32_e32 v45, v37, v49
	v_cndmask_b32_e64 v37, -v39, v39, s6
	ds_bpermute_b32 v49, v3, v15
	v_cndmask_b32_e64 v15, -v15, v15, s7
	ds_bpermute_b32 v39, v3, v7
	ds_bpermute_b32 v36, v3, v21
	v_cndmask_b32_e64 v7, -v7, v7, s7
	s_waitcnt lgkmcnt(4)
	v_add_f32_e32 v16, v2, v38
	ds_bpermute_b32 v38, v3, v26
	v_cndmask_b32_e64 v26, -v26, v26, s7
	v_add_f32_e32 v41, v37, v41
	ds_bpermute_b32 v37, v3, v12
	v_cndmask_b32_e64 v12, -v12, v12, s7
	v_cndmask_b32_e64 v2, -v21, v21, s7
	s_mul_hi_u32 s6, s10, s15
	s_delay_alu instid0(SALU_CYCLE_1)
	s_add_i32 s5, s6, s5
	s_mul_i32 s6, s11, s15
	s_waitcnt lgkmcnt(4)
	v_add_f32_e32 v15, v15, v49
	ds_bpermute_b32 v49, v3, v25
	v_cndmask_b32_e64 v25, -v25, v25, s7
	s_waitcnt lgkmcnt(4)
	v_add_f32_e32 v7, v7, v39
	s_waitcnt lgkmcnt(3)
	v_dual_add_f32 v21, v2, v36 :: v_dual_add_f32 v36, v29, v46
	s_waitcnt lgkmcnt(2)
	v_add_f32_e32 v26, v26, v38
	ds_bpermute_b32 v39, v3, v17
	v_cndmask_b32_e64 v17, -v17, v17, s7
	s_waitcnt lgkmcnt(2)
	v_add_f32_e32 v12, v12, v37
	ds_bpermute_b32 v37, v3, v22
	v_cndmask_b32_e64 v22, -v22, v22, s7
	ds_bpermute_b32 v42, v3, v23
	v_cndmask_b32_e64 v23, -v23, v23, s7
	v_add_f32_e32 v38, v31, v48
	v_cndmask_b32_e64 v31, -v40, v40, s7
	s_waitcnt lgkmcnt(3)
	v_add_f32_e32 v25, v25, v49
	ds_bpermute_b32 v49, v3, v41
	s_waitcnt lgkmcnt(3)
	v_add_f32_e32 v17, v17, v39
	ds_bpermute_b32 v39, v3, v27
	v_cndmask_b32_e64 v27, -v27, v27, s7
	s_waitcnt lgkmcnt(3)
	v_add_f32_e32 v22, v22, v37
	ds_bpermute_b32 v2, v3, v43
	v_cndmask_b32_e64 v29, -v43, v43, s7
	v_cndmask_b32_e64 v43, -v41, v41, s7
	v_add_f32_e32 v9, v9, v47
	ds_bpermute_b32 v47, v3, v19
	v_cndmask_b32_e64 v19, -v19, v19, s7
	s_waitcnt lgkmcnt(4)
	v_add_f32_e32 v23, v23, v42
	ds_bpermute_b32 v42, v3, v45
	v_add_f32_e32 v41, v31, v44
	s_waitcnt lgkmcnt(3)
	v_add_f32_e32 v27, v27, v39
	s_waitcnt lgkmcnt(2)
	;; [unrolled: 2-line block ×3, first 2 shown]
	v_add_f32_e32 v19, v19, v47
	ds_bpermute_b32 v47, v3, v30
	ds_bpermute_b32 v3, v3, v1
	v_cndmask_b32_e64 v30, -v30, v30, s7
	v_cndmask_b32_e64 v1, -v1, v1, s7
	s_waitcnt lgkmcnt(1)
	s_delay_alu instid0(VALU_DEP_2) | instskip(SKIP_4) | instid1(VALU_DEP_1)
	v_add_f32_e32 v37, v30, v47
	v_cndmask_b32_e64 v30, -v45, v45, s7
	s_add_i32 s7, s5, s6
	s_load_b32 s5, s[0:1], 0x20
	s_mul_i32 s6, s10, s15
	v_add_f32_e32 v40, v30, v42
	s_waitcnt lgkmcnt(0)
	v_dual_add_f32 v42, v43, v49 :: v_dual_add_f32 v43, v1, v3
	ds_store_b128 v0, v[4:7]
	ds_store_b128 v0, v[8:11] offset:4096
	ds_store_b128 v0, v[12:15] offset:8192
	;; [unrolled: 1-line block ×7, first 2 shown]
	s_waitcnt lgkmcnt(0)
	s_barrier
	buffer_gl0_inv
	ds_load_b128 v[0:3], v28 offset:8192
	ds_load_b128 v[8:11], v28
	ds_load_b128 v[4:7], v28 offset:16384
	ds_load_b128 v[12:15], v28 offset:24576
	;; [unrolled: 1-line block ×6, first 2 shown]
	s_lshl_b64 s[0:1], s[6:7], 1
	s_delay_alu instid0(SALU_CYCLE_1)
	s_add_u32 s0, s18, s0
	s_addc_u32 s1, s19, s1
	s_waitcnt lgkmcnt(2)
	v_dual_add_f32 v41, v8, v0 :: v_dual_add_f32 v38, v17, v25
	v_add_f32_e32 v42, v9, v1
	v_dual_add_f32 v46, v4, v12 :: v_dual_add_f32 v47, v5, v13
	v_dual_add_f32 v45, v10, v2 :: v_dual_add_f32 v36, v11, v3
	v_add_f32_e32 v49, v6, v14
	v_add_f32_e32 v37, v7, v15
	;; [unrolled: 1-line block ×3, first 2 shown]
	s_waitcnt lgkmcnt(0)
	v_dual_add_f32 v43, v20, v28 :: v_dual_add_f32 v40, v21, v29
	v_add_f32_e32 v50, v18, v26
	v_dual_add_f32 v44, v19, v27 :: v_dual_add_f32 v51, v22, v30
	v_add_f32_e32 v48, v23, v31
	s_and_saveexec_b32 s6, vcc_lo
	s_cbranch_execz .LBB23_10
; %bb.9:
	s_delay_alu instid0(VALU_DEP_1) | instskip(SKIP_3) | instid1(VALU_DEP_3)
	v_dual_add_f32 v56, v44, v48 :: v_dual_add_f32 v53, v39, v43
	v_dual_add_f32 v52, v50, v51 :: v_dual_add_f32 v59, v45, v49
	;; [unrolled: 1-line block ×4, first 2 shown]
	v_fma_mixlo_f16 v55, s5, v52, 0
	v_fma_mixlo_f16 v54, s5, v53, 0
	;; [unrolled: 1-line block ×4, first 2 shown]
	s_delay_alu instid0(VALU_DEP_4) | instskip(NEXT) | instid1(VALU_DEP_4)
	v_fma_mixhi_f16 v55, s5, v56, 0
	v_fma_mixhi_f16 v54, s5, v57, 0
	s_delay_alu instid0(VALU_DEP_4) | instskip(NEXT) | instid1(VALU_DEP_4)
	v_fma_mixhi_f16 v53, s5, v58, 0
	v_fma_mixhi_f16 v52, s5, v61, 0
	global_store_b128 v32, v[52:55], s[0:1]
.LBB23_10:
	s_or_b32 exec_lo, exec_lo, s6
	v_dual_sub_f32 v9, v9, v1 :: v_dual_sub_f32 v8, v8, v0
	v_dual_sub_f32 v13, v5, v13 :: v_dual_sub_f32 v12, v4, v12
	;; [unrolled: 1-line block ×7, first 2 shown]
	v_sub_f32_e32 v14, v18, v26
	v_sub_f32_e32 v15, v22, v30
	s_and_saveexec_b32 s6, s2
	s_cbranch_execnz .LBB23_14
; %bb.11:
	s_or_b32 exec_lo, exec_lo, s6
	s_and_saveexec_b32 s2, s3
	s_cbranch_execnz .LBB23_15
.LBB23_12:
	s_or_b32 exec_lo, exec_lo, s2
	s_and_saveexec_b32 s2, s4
	s_cbranch_execnz .LBB23_16
.LBB23_13:
	s_nop 0
	s_sendmsg sendmsg(MSG_DEALLOC_VGPRS)
	s_endpgm
.LBB23_14:
	v_dual_add_f32 v16, v8, v12 :: v_dual_add_f32 v23, v2, v3
	v_dual_add_f32 v20, v9, v13 :: v_dual_add_f32 v21, v4, v6
	;; [unrolled: 1-line block ×3, first 2 shown]
	v_add_f32_e32 v22, v11, v10
	v_add_f32_e32 v24, v5, v7
	v_fma_mixlo_f16 v16, s5, v16, 0
	s_delay_alu instid0(VALU_DEP_4) | instskip(SKIP_2) | instid1(VALU_DEP_4)
	v_fma_mixlo_f16 v17, s5, v17, 0
	v_fma_mixlo_f16 v19, s5, v18, 0
	;; [unrolled: 1-line block ×3, first 2 shown]
	v_fma_mixhi_f16 v16, s5, v20, 0
	s_delay_alu instid0(VALU_DEP_4) | instskip(NEXT) | instid1(VALU_DEP_4)
	v_fma_mixhi_f16 v17, s5, v22, 0
	v_fma_mixhi_f16 v19, s5, v24, 0
	s_delay_alu instid0(VALU_DEP_4)
	v_fma_mixhi_f16 v18, s5, v23, 0
	global_store_b128 v33, v[16:19], s[0:1]
	s_or_b32 exec_lo, exec_lo, s6
	s_and_saveexec_b32 s2, s3
	s_cbranch_execz .LBB23_12
.LBB23_15:
	v_dual_sub_f32 v16, v41, v46 :: v_dual_sub_f32 v21, v39, v43
	v_dual_sub_f32 v20, v42, v47 :: v_dual_sub_f32 v17, v45, v49
	v_sub_f32_e32 v18, v50, v51
	v_dual_sub_f32 v22, v36, v37 :: v_dual_sub_f32 v23, v38, v40
	v_sub_f32_e32 v24, v44, v48
	s_delay_alu instid0(VALU_DEP_4) | instskip(NEXT) | instid1(VALU_DEP_4)
	v_fma_mixlo_f16 v17, s5, v17, 0
	v_fma_mixlo_f16 v19, s5, v18, 0
	;; [unrolled: 1-line block ×4, first 2 shown]
	s_delay_alu instid0(VALU_DEP_4) | instskip(NEXT) | instid1(VALU_DEP_4)
	v_fma_mixhi_f16 v17, s5, v22, 0
	v_fma_mixhi_f16 v19, s5, v24, 0
	s_delay_alu instid0(VALU_DEP_4) | instskip(NEXT) | instid1(VALU_DEP_4)
	v_fma_mixhi_f16 v18, s5, v23, 0
	v_fma_mixhi_f16 v16, s5, v20, 0
	global_store_b128 v34, v[16:19], s[0:1]
	s_or_b32 exec_lo, exec_lo, s2
	s_and_saveexec_b32 s2, s4
	s_cbranch_execz .LBB23_13
.LBB23_16:
	v_dual_sub_f32 v9, v9, v13 :: v_dual_sub_f32 v8, v8, v12
	v_dual_sub_f32 v10, v11, v10 :: v_dual_sub_f32 v11, v14, v15
	;; [unrolled: 1-line block ×3, first 2 shown]
	v_sub_f32_e32 v0, v0, v1
	v_sub_f32_e32 v6, v2, v3
	s_delay_alu instid0(VALU_DEP_4) | instskip(NEXT) | instid1(VALU_DEP_4)
	v_fma_mixlo_f16 v3, s5, v11, 0
	v_fma_mixlo_f16 v2, s5, v4, 0
	s_delay_alu instid0(VALU_DEP_4) | instskip(SKIP_1) | instid1(VALU_DEP_4)
	v_fma_mixlo_f16 v1, s5, v0, 0
	v_fma_mixlo_f16 v0, s5, v8, 0
	v_fma_mixhi_f16 v3, s5, v5, 0
	s_delay_alu instid0(VALU_DEP_4) | instskip(NEXT) | instid1(VALU_DEP_4)
	v_fma_mixhi_f16 v2, s5, v6, 0
	v_fma_mixhi_f16 v1, s5, v10, 0
	s_delay_alu instid0(VALU_DEP_4)
	v_fma_mixhi_f16 v0, s5, v9, 0
	global_store_b128 v35, v[0:3], s[0:1]
	s_nop 0
	s_sendmsg sendmsg(MSG_DEALLOC_VGPRS)
	s_endpgm
	.section	.rodata,"a",@progbits
	.p2align	6, 0x0
	.amdhsa_kernel _Z30fast_hadamard_transform_kernelI37fast_hadamard_transform_kernel_traitsILi256ELi13E6__halfEEv18HadamardParamsBase
		.amdhsa_group_segment_fixed_size 0
		.amdhsa_private_segment_fixed_size 0
		.amdhsa_kernarg_size 312
		.amdhsa_user_sgpr_count 15
		.amdhsa_user_sgpr_dispatch_ptr 0
		.amdhsa_user_sgpr_queue_ptr 0
		.amdhsa_user_sgpr_kernarg_segment_ptr 1
		.amdhsa_user_sgpr_dispatch_id 0
		.amdhsa_user_sgpr_private_segment_size 0
		.amdhsa_wavefront_size32 1
		.amdhsa_uses_dynamic_stack 0
		.amdhsa_enable_private_segment 0
		.amdhsa_system_sgpr_workgroup_id_x 1
		.amdhsa_system_sgpr_workgroup_id_y 0
		.amdhsa_system_sgpr_workgroup_id_z 0
		.amdhsa_system_sgpr_workgroup_info 0
		.amdhsa_system_vgpr_workitem_id 0
		.amdhsa_next_free_vgpr 62
		.amdhsa_next_free_sgpr 20
		.amdhsa_reserve_vcc 1
		.amdhsa_float_round_mode_32 0
		.amdhsa_float_round_mode_16_64 0
		.amdhsa_float_denorm_mode_32 3
		.amdhsa_float_denorm_mode_16_64 3
		.amdhsa_dx10_clamp 1
		.amdhsa_ieee_mode 1
		.amdhsa_fp16_overflow 0
		.amdhsa_workgroup_processor_mode 1
		.amdhsa_memory_ordered 1
		.amdhsa_forward_progress 0
		.amdhsa_shared_vgpr_count 0
		.amdhsa_exception_fp_ieee_invalid_op 0
		.amdhsa_exception_fp_denorm_src 0
		.amdhsa_exception_fp_ieee_div_zero 0
		.amdhsa_exception_fp_ieee_overflow 0
		.amdhsa_exception_fp_ieee_underflow 0
		.amdhsa_exception_fp_ieee_inexact 0
		.amdhsa_exception_int_div_zero 0
	.end_amdhsa_kernel
	.section	.text._Z30fast_hadamard_transform_kernelI37fast_hadamard_transform_kernel_traitsILi256ELi13E6__halfEEv18HadamardParamsBase,"axG",@progbits,_Z30fast_hadamard_transform_kernelI37fast_hadamard_transform_kernel_traitsILi256ELi13E6__halfEEv18HadamardParamsBase,comdat
.Lfunc_end23:
	.size	_Z30fast_hadamard_transform_kernelI37fast_hadamard_transform_kernel_traitsILi256ELi13E6__halfEEv18HadamardParamsBase, .Lfunc_end23-_Z30fast_hadamard_transform_kernelI37fast_hadamard_transform_kernel_traitsILi256ELi13E6__halfEEv18HadamardParamsBase
                                        ; -- End function
	.section	.AMDGPU.csdata,"",@progbits
; Kernel info:
; codeLenInByte = 7968
; NumSgprs: 22
; NumVgprs: 62
; ScratchSize: 0
; MemoryBound: 0
; FloatMode: 240
; IeeeMode: 1
; LDSByteSize: 0 bytes/workgroup (compile time only)
; SGPRBlocks: 2
; VGPRBlocks: 7
; NumSGPRsForWavesPerEU: 22
; NumVGPRsForWavesPerEU: 62
; Occupancy: 16
; WaveLimiterHint : 0
; COMPUTE_PGM_RSRC2:SCRATCH_EN: 0
; COMPUTE_PGM_RSRC2:USER_SGPR: 15
; COMPUTE_PGM_RSRC2:TRAP_HANDLER: 0
; COMPUTE_PGM_RSRC2:TGID_X_EN: 1
; COMPUTE_PGM_RSRC2:TGID_Y_EN: 0
; COMPUTE_PGM_RSRC2:TGID_Z_EN: 0
; COMPUTE_PGM_RSRC2:TIDIG_COMP_CNT: 0
	.section	.text._Z30fast_hadamard_transform_kernelI37fast_hadamard_transform_kernel_traitsILi256ELi14E6__halfEEv18HadamardParamsBase,"axG",@progbits,_Z30fast_hadamard_transform_kernelI37fast_hadamard_transform_kernel_traitsILi256ELi14E6__halfEEv18HadamardParamsBase,comdat
	.protected	_Z30fast_hadamard_transform_kernelI37fast_hadamard_transform_kernel_traitsILi256ELi14E6__halfEEv18HadamardParamsBase ; -- Begin function _Z30fast_hadamard_transform_kernelI37fast_hadamard_transform_kernel_traitsILi256ELi14E6__halfEEv18HadamardParamsBase
	.globl	_Z30fast_hadamard_transform_kernelI37fast_hadamard_transform_kernel_traitsILi256ELi14E6__halfEEv18HadamardParamsBase
	.p2align	8
	.type	_Z30fast_hadamard_transform_kernelI37fast_hadamard_transform_kernel_traitsILi256ELi14E6__halfEEv18HadamardParamsBase,@function
_Z30fast_hadamard_transform_kernelI37fast_hadamard_transform_kernel_traitsILi256ELi14E6__halfEEv18HadamardParamsBase: ; @_Z30fast_hadamard_transform_kernelI37fast_hadamard_transform_kernel_traitsILi256ELi14E6__halfEEv18HadamardParamsBase
; %bb.0:
	s_clause 0x3
	s_load_b128 s[20:23], s[0:1], 0x10
	s_load_b32 s8, s[0:1], 0x4
	s_load_b128 s[16:19], s[0:1], 0x28
	s_load_b32 s2, s[0:1], 0x44
	s_ashr_i32 s13, s15, 31
	v_lshlrev_b32_e32 v9, 3, v0
	v_dual_mov_b32 v1, 0 :: v_dual_mov_b32 v2, 0
	v_dual_mov_b32 v3, 0 :: v_dual_mov_b32 v4, 0
	;; [unrolled: 1-line block ×4, first 2 shown]
	v_lshlrev_b32_e32 v68, 4, v0
	s_waitcnt lgkmcnt(0)
	s_mul_hi_u32 s3, s20, s15
	s_mul_i32 s4, s20, s13
	s_mul_i32 s5, s21, s15
	s_add_i32 s3, s3, s4
	s_mul_i32 s6, s20, s15
	s_add_i32 s7, s3, s5
	v_cmp_gt_u32_e64 s5, s8, v9
	v_mov_b32_e32 v9, 0
	s_lshl_b64 s[6:7], s[6:7], 1
	s_delay_alu instid0(SALU_CYCLE_1)
	s_add_u32 s10, s16, s6
	s_addc_u32 s11, s17, s7
	s_and_saveexec_b32 s3, s5
	s_cbranch_execz .LBB24_2
; %bb.1:
	global_load_b128 v[9:12], v68, s[10:11]
	s_waitcnt vmcnt(0)
	v_lshrrev_b32_e32 v3, 16, v9
	v_cvt_f32_f16_e32 v6, v10
	v_lshrrev_b32_e32 v5, 16, v10
	v_cvt_f32_f16_e32 v4, v11
	v_lshrrev_b32_e32 v10, 16, v11
	v_lshrrev_b32_e32 v11, 16, v12
	v_cvt_f32_f16_e32 v8, v9
	v_cvt_f32_f16_e32 v2, v12
	;; [unrolled: 1-line block ×6, first 2 shown]
.LBB24_2:
	s_or_b32 exec_lo, exec_lo, s3
	s_and_b32 s9, 0xffff, s2
	v_dual_mov_b32 v12, 0 :: v_dual_mov_b32 v13, 0
	v_dual_mov_b32 v11, 0 :: v_dual_add_nc_u32 v16, s9, v0
	v_mov_b32_e32 v10, 0
	v_dual_mov_b32 v14, 0 :: v_dual_mov_b32 v15, 0
	s_delay_alu instid0(VALU_DEP_3) | instskip(SKIP_2) | instid1(VALU_DEP_3)
	v_lshlrev_b32_e32 v17, 3, v16
	v_lshlrev_b32_e32 v64, 4, v16
	v_mov_b32_e32 v18, 0
	v_cmp_gt_u32_e32 vcc_lo, s8, v17
	s_and_saveexec_b32 s2, vcc_lo
	s_cbranch_execz .LBB24_4
; %bb.3:
	global_load_b128 v[17:20], v64, s[10:11]
	s_waitcnt vmcnt(0)
	v_cvt_f32_f16_e32 v15, v17
	v_lshrrev_b32_e32 v10, 16, v17
	v_lshrrev_b32_e32 v12, 16, v18
	v_cvt_f32_f16_e32 v11, v19
	v_lshrrev_b32_e32 v17, 16, v19
	v_lshrrev_b32_e32 v19, 16, v20
	v_cvt_f32_f16_e32 v13, v18
	v_cvt_f32_f16_e32 v1, v20
	;; [unrolled: 1-line block ×6, first 2 shown]
.LBB24_4:
	s_or_b32 exec_lo, exec_lo, s2
	v_dual_mov_b32 v17, 0 :: v_dual_add_nc_u32 v26, s9, v16
	v_dual_mov_b32 v16, 0 :: v_dual_mov_b32 v19, 0
	v_dual_mov_b32 v20, 0 :: v_dual_mov_b32 v21, 0
	s_delay_alu instid0(VALU_DEP_3) | instskip(SKIP_2) | instid1(VALU_DEP_3)
	v_dual_mov_b32 v23, 0 :: v_dual_lshlrev_b32 v24, 3, v26
	v_dual_mov_b32 v22, 0 :: v_dual_lshlrev_b32 v65, 4, v26
	v_mov_b32_e32 v25, 0
	v_cmp_gt_u32_e64 s2, s8, v24
	v_mov_b32_e32 v24, 0
	s_delay_alu instid0(VALU_DEP_2)
	s_and_saveexec_b32 s3, s2
	s_cbranch_execz .LBB24_6
; %bb.5:
	global_load_b128 v[27:30], v65, s[10:11]
	s_waitcnt vmcnt(0)
	v_cvt_f32_f16_e32 v24, v27
	v_lshrrev_b32_e32 v19, 16, v27
	v_cvt_f32_f16_e32 v22, v28
	v_lshrrev_b32_e32 v21, 16, v28
	v_lshrrev_b32_e32 v27, 16, v29
	;; [unrolled: 1-line block ×3, first 2 shown]
	v_cvt_f32_f16_e32 v20, v29
	v_cvt_f32_f16_e32 v17, v30
	;; [unrolled: 1-line block ×6, first 2 shown]
.LBB24_6:
	s_or_b32 exec_lo, exec_lo, s3
	v_dual_mov_b32 v27, 0 :: v_dual_add_nc_u32 v32, s9, v26
	v_mov_b32_e32 v26, 0
	v_dual_mov_b32 v28, 0 :: v_dual_mov_b32 v29, 0
	s_delay_alu instid0(VALU_DEP_3) | instskip(SKIP_2) | instid1(VALU_DEP_3)
	v_dual_mov_b32 v30, 0 :: v_dual_lshlrev_b32 v33, 3, v32
	v_dual_mov_b32 v31, 0 :: v_dual_lshlrev_b32 v66, 4, v32
	v_mov_b32_e32 v34, 0
	v_cmp_gt_u32_e64 s3, s8, v33
	s_delay_alu instid0(VALU_DEP_1)
	s_and_saveexec_b32 s4, s3
	s_cbranch_execz .LBB24_8
; %bb.7:
	global_load_b128 v[33:36], v66, s[10:11]
	s_waitcnt vmcnt(0)
	v_cvt_f32_f16_e32 v31, v33
	v_lshrrev_b32_e32 v26, 16, v33
	v_lshrrev_b32_e32 v28, 16, v34
	v_cvt_f32_f16_e32 v27, v35
	v_lshrrev_b32_e32 v33, 16, v35
	v_lshrrev_b32_e32 v35, 16, v36
	v_cvt_f32_f16_e32 v29, v34
	v_cvt_f32_f16_e32 v16, v36
	;; [unrolled: 1-line block ×6, first 2 shown]
.LBB24_8:
	s_or_b32 exec_lo, exec_lo, s4
	v_dual_mov_b32 v33, 0 :: v_dual_add_nc_u32 v42, s9, v32
	v_dual_mov_b32 v32, 0 :: v_dual_mov_b32 v35, 0
	v_dual_mov_b32 v36, 0 :: v_dual_mov_b32 v37, 0
	s_delay_alu instid0(VALU_DEP_3) | instskip(SKIP_2) | instid1(VALU_DEP_3)
	v_dual_mov_b32 v39, 0 :: v_dual_lshlrev_b32 v40, 3, v42
	v_dual_mov_b32 v38, 0 :: v_dual_lshlrev_b32 v67, 4, v42
	v_mov_b32_e32 v41, 0
	v_cmp_gt_u32_e64 s4, s8, v40
	v_mov_b32_e32 v40, 0
	s_delay_alu instid0(VALU_DEP_2)
	s_and_saveexec_b32 s6, s4
	s_cbranch_execz .LBB24_10
; %bb.9:
	global_load_b128 v[43:46], v67, s[10:11]
	s_waitcnt vmcnt(0)
	v_cvt_f32_f16_e32 v40, v43
	v_lshrrev_b32_e32 v35, 16, v43
	v_cvt_f32_f16_e32 v38, v44
	v_lshrrev_b32_e32 v37, 16, v44
	v_lshrrev_b32_e32 v43, 16, v45
	;; [unrolled: 1-line block ×3, first 2 shown]
	v_cvt_f32_f16_e32 v36, v45
	v_cvt_f32_f16_e32 v33, v46
	;; [unrolled: 1-line block ×6, first 2 shown]
.LBB24_10:
	s_or_b32 exec_lo, exec_lo, s6
	v_dual_mov_b32 v43, 0 :: v_dual_add_nc_u32 v48, s9, v42
	v_mov_b32_e32 v42, 0
	v_dual_mov_b32 v44, 0 :: v_dual_mov_b32 v45, 0
	s_delay_alu instid0(VALU_DEP_3) | instskip(SKIP_2) | instid1(VALU_DEP_3)
	v_dual_mov_b32 v46, 0 :: v_dual_lshlrev_b32 v49, 3, v48
	v_mov_b32_e32 v47, 0
	v_dual_mov_b32 v50, 0 :: v_dual_lshlrev_b32 v69, 4, v48
	v_cmp_gt_u32_e64 s6, s8, v49
	s_delay_alu instid0(VALU_DEP_1)
	s_and_saveexec_b32 s7, s6
	s_cbranch_execz .LBB24_12
; %bb.11:
	global_load_b128 v[49:52], v69, s[10:11]
	s_waitcnt vmcnt(0)
	v_cvt_f32_f16_e32 v47, v49
	v_lshrrev_b32_e32 v42, 16, v49
	v_lshrrev_b32_e32 v44, 16, v50
	v_cvt_f32_f16_e32 v43, v51
	v_lshrrev_b32_e32 v49, 16, v51
	v_lshrrev_b32_e32 v51, 16, v52
	v_cvt_f32_f16_e32 v45, v50
	v_cvt_f32_f16_e32 v32, v52
	;; [unrolled: 1-line block ×6, first 2 shown]
.LBB24_12:
	s_or_b32 exec_lo, exec_lo, s7
	v_dual_mov_b32 v49, 0 :: v_dual_add_nc_u32 v58, s9, v48
	v_dual_mov_b32 v48, 0 :: v_dual_mov_b32 v51, 0
	v_dual_mov_b32 v52, 0 :: v_dual_mov_b32 v53, 0
	s_delay_alu instid0(VALU_DEP_3) | instskip(SKIP_2) | instid1(VALU_DEP_3)
	v_dual_mov_b32 v55, 0 :: v_dual_lshlrev_b32 v56, 3, v58
	v_dual_mov_b32 v54, 0 :: v_dual_mov_b32 v57, 0
	v_lshlrev_b32_e32 v70, 4, v58
	v_cmp_gt_u32_e64 s7, s8, v56
	v_mov_b32_e32 v56, 0
	s_delay_alu instid0(VALU_DEP_2)
	s_and_saveexec_b32 s12, s7
	s_cbranch_execz .LBB24_14
; %bb.13:
	global_load_b128 v[59:62], v70, s[10:11]
	s_waitcnt vmcnt(0)
	v_cvt_f32_f16_e32 v56, v59
	v_lshrrev_b32_e32 v51, 16, v59
	v_cvt_f32_f16_e32 v54, v60
	v_lshrrev_b32_e32 v53, 16, v60
	v_lshrrev_b32_e32 v59, 16, v61
	;; [unrolled: 1-line block ×3, first 2 shown]
	v_cvt_f32_f16_e32 v52, v61
	v_cvt_f32_f16_e32 v49, v62
	;; [unrolled: 1-line block ×6, first 2 shown]
.LBB24_14:
	s_or_b32 exec_lo, exec_lo, s12
	v_dual_mov_b32 v58, 0 :: v_dual_add_nc_u32 v71, s9, v58
	v_dual_mov_b32 v59, 0 :: v_dual_mov_b32 v60, 0
	v_dual_mov_b32 v62, 0 :: v_dual_mov_b32 v63, 0
	s_delay_alu instid0(VALU_DEP_3) | instskip(SKIP_1) | instid1(VALU_DEP_2)
	v_dual_mov_b32 v61, 0 :: v_dual_lshlrev_b32 v72, 3, v71
	v_lshlrev_b32_e32 v71, 4, v71
	v_cmp_gt_u32_e64 s8, s8, v72
	v_mov_b32_e32 v72, 0
	s_delay_alu instid0(VALU_DEP_2)
	s_and_saveexec_b32 s9, s8
	s_cbranch_execz .LBB24_16
; %bb.15:
	global_load_b128 v[72:75], v71, s[10:11]
	s_waitcnt vmcnt(0)
	v_lshrrev_b32_e32 v58, 16, v72
	v_cvt_f32_f16_e32 v61, v73
	v_lshrrev_b32_e32 v60, 16, v73
	v_cvt_f32_f16_e32 v59, v74
	v_lshrrev_b32_e32 v73, 16, v74
	v_lshrrev_b32_e32 v74, 16, v75
	v_cvt_f32_f16_e32 v63, v72
	v_cvt_f32_f16_e32 v48, v75
	;; [unrolled: 1-line block ×6, first 2 shown]
.LBB24_16:
	s_or_b32 exec_lo, exec_lo, s9
	v_dual_add_f32 v73, v9, v8 :: v_dual_sub_f32 v8, v8, v9
	v_add_f32_e32 v9, v18, v15
	v_dual_sub_f32 v15, v15, v18 :: v_dual_add_f32 v18, v25, v24
	v_dual_sub_f32 v24, v24, v25 :: v_dual_add_f32 v25, v34, v31
	;; [unrolled: 1-line block ×5, first 2 shown]
	v_sub_f32_e32 v56, v56, v57
	v_add_f32_e32 v57, v72, v63
	v_sub_f32_e32 v63, v63, v72
	v_add_f32_e32 v72, v7, v6
	;; [unrolled: 2-line block ×17, first 2 shown]
	v_dual_sub_f32 v59, v59, v60 :: v_dual_add_f32 v60, v2, v3
	v_sub_f32_e32 v2, v2, v3
	v_add_f32_e32 v3, v10, v1
	v_dual_sub_f32 v1, v1, v10 :: v_dual_add_f32 v10, v19, v17
	v_sub_f32_e32 v17, v17, v19
	v_dual_add_f32 v19, v26, v16 :: v_dual_sub_f32 v16, v16, v26
	v_dual_add_f32 v26, v35, v33 :: v_dual_sub_f32 v33, v33, v35
	v_dual_add_f32 v35, v42, v32 :: v_dual_sub_f32 v32, v32, v42
	v_dual_add_f32 v42, v51, v49 :: v_dual_sub_f32 v49, v49, v51
	v_dual_add_f32 v51, v58, v48 :: v_dual_sub_f32 v48, v48, v58
	v_add_f32_e32 v58, v72, v73
	v_dual_sub_f32 v72, v73, v72 :: v_dual_add_f32 v73, v7, v9
	v_sub_f32_e32 v7, v9, v7
	v_add_f32_e32 v9, v14, v18
	v_sub_f32_e32 v14, v18, v14
	v_dual_add_f32 v18, v23, v25 :: v_dual_sub_f32 v23, v25, v23
	v_add_f32_e32 v25, v30, v34
	v_sub_f32_e32 v30, v34, v30
	v_dual_add_f32 v34, v39, v41 :: v_dual_sub_f32 v39, v41, v39
	;; [unrolled: 3-line block ×3, first 2 shown]
	v_dual_add_f32 v57, v6, v8 :: v_dual_sub_f32 v6, v8, v6
	v_dual_add_f32 v8, v13, v15 :: v_dual_sub_f32 v13, v15, v13
	v_dual_add_f32 v15, v22, v24 :: v_dual_sub_f32 v22, v24, v22
	v_dual_add_f32 v24, v29, v31 :: v_dual_sub_f32 v29, v31, v29
	v_dual_add_f32 v31, v38, v40 :: v_dual_sub_f32 v38, v40, v38
	v_dual_add_f32 v40, v45, v47 :: v_dual_sub_f32 v45, v47, v45
	v_dual_add_f32 v47, v54, v56 :: v_dual_sub_f32 v54, v56, v54
	v_dual_add_f32 v56, v61, v63 :: v_dual_sub_f32 v61, v63, v61
	v_add_f32_e32 v63, v62, v60
	v_sub_f32_e32 v60, v62, v60
	v_dual_add_f32 v62, v3, v5 :: v_dual_sub_f32 v3, v5, v3
	v_dual_add_f32 v5, v10, v12 :: v_dual_sub_f32 v10, v12, v10
	;; [unrolled: 1-line block ×7, first 2 shown]
	v_add_f32_e32 v53, v4, v2
	v_sub_f32_e32 v2, v4, v2
	v_dual_add_f32 v4, v1, v11 :: v_dual_sub_f32 v11, v11, v1
	v_add_f32_e32 v1, v17, v20
	v_sub_f32_e32 v17, v20, v17
	v_add_f32_e32 v20, v16, v27
	v_sub_f32_e32 v16, v27, v16
	;; [unrolled: 2-line block ×5, first 2 shown]
	v_add_f32_e32 v52, v48, v59
	v_dual_sub_f32 v48, v59, v48 :: v_dual_add_f32 v59, v58, v63
	v_sub_f32_e32 v58, v58, v63
	v_dual_add_f32 v63, v62, v73 :: v_dual_sub_f32 v62, v73, v62
	v_add_f32_e32 v73, v5, v9
	v_sub_f32_e32 v5, v9, v5
	v_dual_add_f32 v9, v12, v18 :: v_dual_sub_f32 v12, v18, v12
	v_add_f32_e32 v18, v21, v25
	;; [unrolled: 3-line block ×3, first 2 shown]
	v_dual_sub_f32 v37, v41, v37 :: v_dual_add_f32 v74, v20, v24
	v_dual_add_f32 v41, v44, v50 :: v_dual_sub_f32 v44, v50, v44
	v_add_f32_e32 v50, v57, v53
	v_dual_sub_f32 v53, v57, v53 :: v_dual_sub_f32 v20, v24, v20
	v_dual_add_f32 v57, v4, v8 :: v_dual_add_f32 v24, v27, v31
	v_sub_f32_e32 v4, v8, v4
	v_dual_add_f32 v8, v1, v15 :: v_dual_sub_f32 v15, v15, v1
	v_sub_f32_e32 v27, v31, v27
	v_add_f32_e32 v31, v36, v40
	v_sub_f32_e32 v36, v40, v36
	v_add_f32_e32 v40, v43, v47
	;; [unrolled: 2-line block ×5, first 2 shown]
	v_sub_f32_e32 v7, v7, v3
	v_mbcnt_lo_u32_b32 v3, -1, 0
	s_load_b32 s12, s[0:1], 0x20
	v_add_f32_e32 v75, v10, v14
	v_sub_f32_e32 v10, v14, v10
	v_add_f32_e32 v14, v19, v23
	v_sub_f32_e32 v19, v23, v19
	v_xor_b32_e32 v1, 1, v3
	v_add_f32_e32 v23, v26, v30
	v_sub_f32_e32 v26, v30, v26
	v_add_f32_e32 v30, v35, v39
	v_sub_f32_e32 v35, v39, v35
	v_cmp_gt_i32_e64 s0, 32, v1
	v_add_f32_e32 v39, v42, v46
	v_sub_f32_e32 v42, v46, v42
	v_add_f32_e32 v46, v51, v55
	v_sub_f32_e32 v51, v55, v51
	v_cndmask_b32_e64 v1, v3, v1, s0
	v_add_f32_e32 v55, v6, v2
	v_sub_f32_e32 v2, v6, v2
	v_dual_add_f32 v6, v11, v13 :: v_dual_sub_f32 v11, v13, v11
	v_dual_add_f32 v13, v17, v22 :: v_dual_add_f32 v78, v16, v29
	v_dual_sub_f32 v17, v22, v17 :: v_dual_sub_f32 v16, v29, v16
	v_and_b32_e32 v22, 1, v0
	v_lshlrev_b32_e32 v1, 2, v1
	v_add_f32_e32 v29, v33, v38
	v_dual_sub_f32 v33, v38, v33 :: v_dual_add_f32 v38, v49, v54
	v_sub_f32_e32 v49, v54, v49
	v_cmp_eq_u32_e64 s1, 0, v22
	ds_bpermute_b32 v76, v1, v59
	ds_bpermute_b32 v77, v1, v50
	v_add_f32_e32 v22, v32, v45
	v_sub_f32_e32 v32, v45, v32
	v_cndmask_b32_e64 v45, -v59, v59, s1
	ds_bpermute_b32 v59, v1, v56
	ds_bpermute_b32 v82, v1, v60
	;; [unrolled: 1-line block ×4, first 2 shown]
	v_cndmask_b32_e64 v50, -v50, v50, s1
	ds_bpermute_b32 v81, v1, v53
	v_add_f32_e32 v54, v48, v61
	v_cndmask_b32_e64 v56, -v56, v56, s1
	v_cndmask_b32_e64 v55, -v55, v55, s1
	v_sub_f32_e32 v48, v61, v48
	v_cndmask_b32_e64 v60, -v60, v60, s1
	ds_bpermute_b32 v61, v1, v2
	v_cndmask_b32_e64 v58, -v58, v58, s1
	v_cndmask_b32_e64 v53, -v53, v53, s1
	ds_bpermute_b32 v83, v1, v72
	s_waitcnt lgkmcnt(0)
	v_dual_add_f32 v45, v45, v76 :: v_dual_add_f32 v50, v50, v77
	ds_bpermute_b32 v76, v1, v63
	ds_bpermute_b32 v77, v1, v57
	;; [unrolled: 1-line block ×3, first 2 shown]
	v_add_f32_e32 v56, v56, v59
	v_add_f32_e32 v59, v60, v82
	v_cndmask_b32_e64 v60, -v63, v63, s1
	v_cndmask_b32_e64 v63, -v72, v72, s1
	ds_bpermute_b32 v72, v1, v62
	v_add_f32_e32 v53, v53, v81
	v_add_f32_e32 v55, v55, v79
	v_cndmask_b32_e64 v57, -v57, v57, s1
	v_add_f32_e32 v58, v58, v80
	ds_bpermute_b32 v79, v1, v4
	ds_bpermute_b32 v80, v1, v7
	v_cndmask_b32_e64 v2, -v2, v2, s1
	ds_bpermute_b32 v81, v1, v11
	ds_bpermute_b32 v82, v1, v73
	v_cndmask_b32_e64 v6, -v6, v6, s1
	v_cndmask_b32_e64 v4, -v4, v4, s1
	s_waitcnt lgkmcnt(7)
	v_dual_add_f32 v61, v2, v61 :: v_dual_add_f32 v60, v60, v76
	v_cndmask_b32_e64 v2, -v62, v62, s1
	v_cndmask_b32_e64 v62, -v73, v73, s1
	ds_bpermute_b32 v73, v1, v8
	s_waitcnt lgkmcnt(7)
	v_add_f32_e32 v57, v57, v77
	v_cndmask_b32_e64 v7, -v7, v7, s1
	v_cndmask_b32_e64 v11, -v11, v11, s1
	ds_bpermute_b32 v76, v1, v75
	ds_bpermute_b32 v77, v1, v13
	s_waitcnt lgkmcnt(7)
	v_add_f32_e32 v72, v2, v72
	v_cndmask_b32_e64 v2, -v8, v8, s1
	v_cndmask_b32_e64 v8, -v75, v75, s1
	ds_bpermute_b32 v75, v1, v10
	v_dual_add_f32 v63, v63, v83 :: v_dual_add_f32 v6, v6, v84
	ds_bpermute_b32 v84, v1, v15
	s_waitcnt lgkmcnt(7)
	v_dual_add_f32 v4, v4, v79 :: v_dual_add_f32 v7, v7, v80
	ds_bpermute_b32 v79, v1, v17
	ds_bpermute_b32 v80, v1, v9
	;; [unrolled: 1-line block ×3, first 2 shown]
	s_waitcnt lgkmcnt(9)
	v_add_f32_e32 v11, v11, v81
	v_cndmask_b32_e64 v13, -v13, v13, s1
	ds_bpermute_b32 v81, v1, v74
	s_waitcnt lgkmcnt(8)
	v_add_f32_e32 v73, v2, v73
	v_cndmask_b32_e64 v2, -v10, v10, s1
	v_cndmask_b32_e64 v10, -v17, v17, s1
	s_waitcnt lgkmcnt(7)
	v_add_f32_e32 v8, v8, v76
	v_cndmask_b32_e64 v17, -v74, v74, s1
	ds_bpermute_b32 v74, v1, v78
	s_waitcnt lgkmcnt(7)
	v_dual_add_f32 v62, v62, v82 :: v_dual_add_f32 v13, v13, v77
	v_cndmask_b32_e64 v15, -v15, v15, s1
	v_cndmask_b32_e64 v9, -v9, v9, s1
	ds_bpermute_b32 v76, v1, v12
	ds_bpermute_b32 v77, v1, v20
	v_cndmask_b32_e64 v12, -v12, v12, s1
	s_waitcnt lgkmcnt(8)
	v_add_f32_e32 v75, v2, v75
	v_cndmask_b32_e64 v2, -v78, v78, s1
	ds_bpermute_b32 v78, v1, v18
	ds_bpermute_b32 v82, v1, v14
	s_waitcnt lgkmcnt(8)
	v_dual_add_f32 v15, v15, v84 :: v_dual_add_f32 v10, v10, v79
	ds_bpermute_b32 v84, v1, v16
	s_waitcnt lgkmcnt(8)
	v_add_f32_e32 v9, v9, v80
	ds_bpermute_b32 v79, v1, v24
	ds_bpermute_b32 v80, v1, v23
	v_cndmask_b32_e64 v5, -v5, v5, s1
	v_cndmask_b32_e64 v14, -v14, v14, s1
	s_waitcnt lgkmcnt(7)
	v_add_f32_e32 v74, v2, v74
	v_cndmask_b32_e64 v20, -v20, v20, s1
	v_cndmask_b32_e64 v16, -v16, v16, s1
	v_add_f32_e32 v5, v5, v83
	ds_bpermute_b32 v83, v1, v19
	v_add_f32_e32 v17, v17, v81
	ds_bpermute_b32 v81, v1, v29
	v_cndmask_b32_e64 v2, -v18, v18, s1
	v_cndmask_b32_e64 v18, -v24, v24, s1
	;; [unrolled: 1-line block ×3, first 2 shown]
	ds_bpermute_b32 v29, v1, v27
	v_cndmask_b32_e64 v19, -v19, v19, s1
	s_waitcnt lgkmcnt(9)
	v_add_f32_e32 v12, v12, v76
	s_waitcnt lgkmcnt(8)
	v_add_f32_e32 v20, v20, v77
	v_cndmask_b32_e64 v23, -v23, v23, s1
	ds_bpermute_b32 v76, v1, v26
	ds_bpermute_b32 v77, v1, v33
	s_waitcnt lgkmcnt(9)
	v_add_f32_e32 v78, v2, v78
	v_cndmask_b32_e64 v2, -v27, v27, s1
	s_waitcnt lgkmcnt(5)
	v_add_f32_e32 v23, v23, v80
	v_cndmask_b32_e64 v27, -v33, v33, s1
	ds_bpermute_b32 v33, v1, v30
	v_add_f32_e32 v14, v14, v82
	ds_bpermute_b32 v82, v1, v21
	v_add_f32_e32 v16, v16, v84
	v_cndmask_b32_e64 v21, -v21, v21, s1
	ds_bpermute_b32 v84, v1, v31
	v_add_f32_e32 v18, v18, v79
	ds_bpermute_b32 v79, v1, v22
	ds_bpermute_b32 v80, v1, v28
	s_waitcnt lgkmcnt(9)
	v_add_f32_e32 v19, v19, v83
	ds_bpermute_b32 v83, v1, v25
	v_cndmask_b32_e64 v26, -v26, v26, s1
	v_cndmask_b32_e64 v25, -v25, v25, s1
	s_waitcnt lgkmcnt(9)
	v_add_f32_e32 v24, v24, v81
	ds_bpermute_b32 v81, v1, v36
	v_cndmask_b32_e64 v28, -v28, v28, s1
	s_waitcnt lgkmcnt(9)
	v_add_f32_e32 v29, v2, v29
	v_cndmask_b32_e64 v2, -v30, v30, s1
	v_cndmask_b32_e64 v30, -v36, v36, s1
	ds_bpermute_b32 v36, v1, v32
	v_cndmask_b32_e64 v31, -v31, v31, s1
	s_waitcnt lgkmcnt(8)
	v_dual_add_f32 v26, v26, v76 :: v_dual_add_f32 v27, v27, v77
	v_cndmask_b32_e64 v22, -v22, v22, s1
	ds_bpermute_b32 v76, v1, v34
	ds_bpermute_b32 v77, v1, v40
	s_waitcnt lgkmcnt(9)
	v_add_f32_e32 v33, v2, v33
	v_cndmask_b32_e64 v2, -v32, v32, s1
	v_cndmask_b32_e64 v32, -v34, v34, s1
	ds_bpermute_b32 v34, v1, v37
	s_waitcnt lgkmcnt(9)
	v_add_f32_e32 v21, v21, v82
	ds_bpermute_b32 v82, v1, v35
	s_waitcnt lgkmcnt(8)
	v_dual_add_f32 v31, v31, v84 :: v_dual_add_f32 v22, v22, v79
	s_waitcnt lgkmcnt(7)
	v_add_f32_e32 v28, v28, v80
	ds_bpermute_b32 v79, v1, v43
	ds_bpermute_b32 v80, v1, v42
	s_waitcnt lgkmcnt(8)
	v_add_f32_e32 v25, v25, v83
	ds_bpermute_b32 v83, v1, v39
	v_cndmask_b32_e64 v40, -v40, v40, s1
	v_cndmask_b32_e64 v39, -v39, v39, s1
	s_waitcnt lgkmcnt(7)
	v_add_f32_e32 v36, v2, v36
	v_cndmask_b32_e64 v2, -v37, v37, s1
	ds_bpermute_b32 v37, v1, v47
	v_cndmask_b32_e64 v35, -v35, v35, s1
	ds_bpermute_b32 v84, v1, v38
	v_add_f32_e32 v30, v30, v81
	ds_bpermute_b32 v81, v1, v49
	s_waitcnt lgkmcnt(9)
	v_add_f32_e32 v32, v32, v76
	ds_bpermute_b32 v76, v1, v46
	v_cndmask_b32_e64 v43, -v43, v43, s1
	s_waitcnt lgkmcnt(7)
	v_dual_add_f32 v35, v35, v82 :: v_dual_add_f32 v40, v40, v77
	v_cndmask_b32_e64 v42, -v42, v42, s1
	v_add_f32_e32 v34, v2, v34
	v_cndmask_b32_e64 v2, -v47, v47, s1
	ds_bpermute_b32 v47, v1, v54
	v_xor_b32_e32 v77, 2, v3
	ds_bpermute_b32 v82, v1, v41
	v_cndmask_b32_e64 v41, -v41, v41, s1
	s_waitcnt lgkmcnt(7)
	v_dual_add_f32 v43, v43, v79 :: v_dual_add_f32 v42, v42, v80
	ds_bpermute_b32 v79, v1, v44
	ds_bpermute_b32 v80, v1, v52
	v_cmp_gt_i32_e64 s0, 32, v77
	v_cndmask_b32_e64 v38, -v38, v38, s1
	v_cndmask_b32_e64 v49, -v49, v49, s1
	v_cndmask_b32_e64 v46, -v46, v46, s1
	v_cndmask_b32_e64 v54, -v54, v54, s1
	v_cndmask_b32_e64 v77, v3, v77, s0
	v_cndmask_b32_e64 v44, -v44, v44, s1
	s_waitcnt lgkmcnt(7)
	v_add_f32_e32 v37, v2, v37
	s_waitcnt lgkmcnt(6)
	v_dual_add_f32 v39, v39, v83 :: v_dual_add_f32 v38, v38, v84
	s_waitcnt lgkmcnt(5)
	v_add_f32_e32 v49, v49, v81
	s_waitcnt lgkmcnt(3)
	v_dual_add_f32 v47, v54, v47 :: v_dual_lshlrev_b32 v2, 2, v77
	v_and_b32_e32 v77, 2, v0
	ds_bpermute_b32 v81, v1, v51
	v_cndmask_b32_e64 v52, -v52, v52, s1
	v_cndmask_b32_e64 v51, -v51, v51, s1
	v_add_f32_e32 v46, v46, v76
	ds_bpermute_b32 v76, v1, v48
	ds_bpermute_b32 v83, v2, v50
	v_cmp_eq_u32_e64 s9, 0, v77
	s_waitcnt lgkmcnt(5)
	v_add_f32_e32 v41, v41, v82
	ds_bpermute_b32 v82, v2, v45
	ds_bpermute_b32 v84, v2, v56
	;; [unrolled: 1-line block ×3, first 2 shown]
	s_waitcnt lgkmcnt(7)
	v_add_f32_e32 v44, v44, v79
	v_cndmask_b32_e64 v45, -v45, v45, s9
	s_waitcnt lgkmcnt(6)
	v_add_f32_e32 v52, v52, v80
	v_cndmask_b32_e64 v54, -v56, v56, s9
	ds_bpermute_b32 v56, v2, v58
	ds_bpermute_b32 v77, v2, v53
	;; [unrolled: 1-line block ×4, first 2 shown]
	v_cndmask_b32_e64 v48, -v48, v48, s1
	v_cndmask_b32_e64 v50, -v50, v50, s9
	s_waitcnt lgkmcnt(9)
	v_add_f32_e32 v51, v51, v81
	v_cndmask_b32_e64 v55, -v55, v55, s9
	ds_bpermute_b32 v81, v2, v60
	s_waitcnt lgkmcnt(9)
	v_add_f32_e32 v48, v48, v76
	v_cndmask_b32_e64 v58, -v58, v58, s9
	v_cndmask_b32_e64 v53, -v53, v53, s9
	s_waitcnt lgkmcnt(8)
	v_add_f32_e32 v50, v50, v83
	v_cndmask_b32_e64 v59, -v59, v59, s9
	v_cndmask_b32_e64 v61, -v61, v61, s9
	ds_bpermute_b32 v76, v2, v57
	ds_bpermute_b32 v83, v2, v6
	s_waitcnt lgkmcnt(9)
	v_add_f32_e32 v45, v45, v82
	s_waitcnt lgkmcnt(7)
	v_add_f32_e32 v55, v55, v85
	ds_bpermute_b32 v82, v2, v63
	ds_bpermute_b32 v85, v2, v4
	s_waitcnt lgkmcnt(7)
	v_add_f32_e32 v53, v53, v77
	ds_bpermute_b32 v77, v2, v11
	v_cndmask_b32_e64 v11, -v11, v11, s9
	v_add_f32_e32 v56, v58, v56
	s_waitcnt lgkmcnt(6)
	v_dual_add_f32 v58, v59, v79 :: v_dual_add_f32 v59, v61, v80
	v_cndmask_b32_e64 v61, -v63, v63, s9
	v_add_f32_e32 v54, v54, v84
	ds_bpermute_b32 v84, v2, v72
	v_cndmask_b32_e64 v63, -v72, v72, s9
	ds_bpermute_b32 v72, v2, v7
	ds_bpermute_b32 v80, v2, v73
	;; [unrolled: 1-line block ×3, first 2 shown]
	v_cndmask_b32_e64 v60, -v60, v60, s9
	v_cndmask_b32_e64 v57, -v57, v57, s9
	;; [unrolled: 1-line block ×5, first 2 shown]
	s_waitcnt lgkmcnt(6)
	v_dual_add_f32 v61, v61, v82 :: v_dual_add_f32 v60, v60, v81
	v_add_f32_e32 v57, v57, v76
	ds_bpermute_b32 v81, v2, v8
	v_add_f32_e32 v6, v6, v83
	v_cndmask_b32_e64 v73, -v73, v73, s9
	ds_bpermute_b32 v76, v2, v13
	ds_bpermute_b32 v83, v2, v15
	s_waitcnt lgkmcnt(8)
	v_add_f32_e32 v4, v4, v85
	v_cndmask_b32_e64 v62, -v62, v62, s9
	s_waitcnt lgkmcnt(6)
	v_add_f32_e32 v63, v63, v84
	ds_bpermute_b32 v82, v2, v5
	s_waitcnt lgkmcnt(6)
	v_add_f32_e32 v7, v7, v72
	ds_bpermute_b32 v84, v2, v75
	ds_bpermute_b32 v85, v2, v10
	v_cndmask_b32_e64 v15, -v15, v15, s9
	s_waitcnt lgkmcnt(7)
	v_add_f32_e32 v72, v73, v80
	v_cndmask_b32_e64 v73, -v75, v75, s9
	ds_bpermute_b32 v75, v2, v9
	v_add_f32_e32 v11, v11, v77
	v_cndmask_b32_e64 v13, -v13, v13, s9
	s_waitcnt lgkmcnt(7)
	v_add_f32_e32 v62, v62, v79
	ds_bpermute_b32 v77, v2, v17
	ds_bpermute_b32 v79, v2, v14
	v_cndmask_b32_e64 v8, -v8, v8, s9
	v_cndmask_b32_e64 v5, -v5, v5, s9
	s_waitcnt lgkmcnt(7)
	v_add_f32_e32 v13, v13, v76
	v_cndmask_b32_e64 v10, -v10, v10, s9
	ds_bpermute_b32 v80, v2, v74
	v_add_f32_e32 v8, v8, v81
	ds_bpermute_b32 v81, v2, v12
	s_waitcnt lgkmcnt(7)
	v_add_f32_e32 v5, v5, v82
	v_add_f32_e32 v15, v15, v83
	v_cndmask_b32_e64 v9, -v9, v9, s9
	ds_bpermute_b32 v76, v2, v20
	ds_bpermute_b32 v83, v2, v16
	s_waitcnt lgkmcnt(7)
	v_dual_add_f32 v73, v73, v84 :: v_dual_add_f32 v10, v10, v85
	v_cndmask_b32_e64 v17, -v17, v17, s9
	v_cndmask_b32_e64 v14, -v14, v14, s9
	;; [unrolled: 1-line block ×3, first 2 shown]
	ds_bpermute_b32 v82, v2, v19
	ds_bpermute_b32 v84, v2, v78
	;; [unrolled: 1-line block ×3, first 2 shown]
	s_waitcnt lgkmcnt(9)
	v_add_f32_e32 v9, v9, v75
	v_cndmask_b32_e64 v75, -v78, v78, s9
	ds_bpermute_b32 v78, v2, v24
	s_waitcnt lgkmcnt(8)
	v_dual_add_f32 v17, v17, v77 :: v_dual_add_f32 v14, v14, v79
	ds_bpermute_b32 v79, v2, v21
	v_cndmask_b32_e64 v12, -v12, v12, s9
	v_cndmask_b32_e64 v20, -v20, v20, s9
	;; [unrolled: 1-line block ×3, first 2 shown]
	ds_bpermute_b32 v77, v2, v23
	s_waitcnt lgkmcnt(9)
	v_add_f32_e32 v74, v74, v80
	v_cndmask_b32_e64 v19, -v19, v19, s9
	s_waitcnt lgkmcnt(8)
	v_add_f32_e32 v12, v12, v81
	v_cndmask_b32_e64 v18, -v18, v18, s9
	ds_bpermute_b32 v80, v2, v29
	ds_bpermute_b32 v81, v2, v26
	s_waitcnt lgkmcnt(9)
	v_add_f32_e32 v20, v20, v76
	s_waitcnt lgkmcnt(6)
	v_dual_add_f32 v76, v16, v83 :: v_dual_add_f32 v75, v75, v84
	v_cndmask_b32_e64 v16, -v23, v23, s9
	v_cndmask_b32_e64 v23, -v24, v24, s9
	v_cndmask_b32_e64 v24, -v29, v29, s9
	ds_bpermute_b32 v29, v2, v27
	ds_bpermute_b32 v83, v2, v31
	v_add_f32_e32 v19, v19, v82
	v_cndmask_b32_e64 v21, -v21, v21, s9
	s_waitcnt lgkmcnt(7)
	v_add_f32_e32 v18, v18, v85
	ds_bpermute_b32 v82, v2, v25
	ds_bpermute_b32 v84, v2, v33
	;; [unrolled: 1-line block ×3, first 2 shown]
	s_waitcnt lgkmcnt(8)
	v_add_f32_e32 v21, v21, v79
	v_add_f32_e32 v23, v23, v78
	ds_bpermute_b32 v78, v2, v30
	ds_bpermute_b32 v79, v2, v35
	v_cndmask_b32_e64 v26, -v26, v26, s9
	s_waitcnt lgkmcnt(9)
	v_add_f32_e32 v77, v16, v77
	v_cndmask_b32_e64 v16, -v27, v27, s9
	v_cndmask_b32_e64 v27, -v31, v31, s9
	;; [unrolled: 1-line block ×3, first 2 shown]
	ds_bpermute_b32 v33, v2, v28
	s_waitcnt lgkmcnt(8)
	v_add_f32_e32 v26, v26, v81
	v_cndmask_b32_e64 v25, -v25, v25, s9
	v_cndmask_b32_e64 v22, -v22, v22, s9
	s_waitcnt lgkmcnt(6)
	v_add_f32_e32 v27, v27, v83
	ds_bpermute_b32 v83, v2, v38
	v_cndmask_b32_e64 v38, -v38, v38, s9
	v_add_f32_e32 v29, v16, v29
	v_cndmask_b32_e64 v16, -v28, v28, s9
	v_cndmask_b32_e64 v28, -v30, v30, s9
	v_cndmask_b32_e64 v30, -v35, v35, s9
	ds_bpermute_b32 v35, v2, v40
	s_waitcnt lgkmcnt(7)
	v_dual_add_f32 v24, v24, v80 :: v_dual_add_f32 v25, v25, v82
	ds_bpermute_b32 v80, v2, v36
	ds_bpermute_b32 v81, v2, v32
	s_waitcnt lgkmcnt(7)
	v_dual_add_f32 v31, v31, v84 :: v_dual_add_f32 v22, v22, v85
	ds_bpermute_b32 v82, v2, v39
	ds_bpermute_b32 v85, v2, v43
	v_cndmask_b32_e64 v43, -v43, v43, s9
	s_waitcnt lgkmcnt(8)
	v_add_f32_e32 v28, v28, v78
	ds_bpermute_b32 v78, v2, v49
	s_waitcnt lgkmcnt(8)
	v_add_f32_e32 v30, v30, v79
	ds_bpermute_b32 v79, v2, v41
	ds_bpermute_b32 v84, v2, v34
	v_cndmask_b32_e64 v34, -v34, v34, s9
	s_waitcnt lgkmcnt(9)
	v_add_f32_e32 v33, v16, v33
	v_cndmask_b32_e64 v16, -v40, v40, s9
	ds_bpermute_b32 v40, v2, v42
	v_cndmask_b32_e64 v36, -v36, v36, s9
	v_cndmask_b32_e64 v32, -v32, v32, s9
	v_cndmask_b32_e64 v39, -v39, v39, s9
	s_waitcnt lgkmcnt(8)
	v_add_f32_e32 v35, v16, v35
	v_cndmask_b32_e64 v16, -v42, v42, s9
	v_cndmask_b32_e64 v42, -v49, v49, s9
	ds_bpermute_b32 v49, v2, v37
	s_waitcnt lgkmcnt(6)
	v_dual_add_f32 v36, v36, v80 :: v_dual_add_f32 v39, v39, v82
	v_cndmask_b32_e64 v41, -v41, v41, s9
	v_add_f32_e32 v32, v32, v81
	ds_bpermute_b32 v80, v2, v46
	ds_bpermute_b32 v81, v2, v47
	v_xor_b32_e32 v82, 4, v3
	s_waitcnt lgkmcnt(5)
	v_dual_add_f32 v41, v41, v79 :: v_dual_add_f32 v42, v42, v78
	ds_bpermute_b32 v78, v2, v52
	ds_bpermute_b32 v79, v2, v51
	v_cmp_gt_i32_e64 s0, 32, v82
	v_cndmask_b32_e64 v37, -v37, v37, s9
	s_waitcnt lgkmcnt(5)
	v_add_f32_e32 v40, v16, v40
	v_add_f32_e32 v38, v38, v83
	;; [unrolled: 1-line block ×3, first 2 shown]
	v_cndmask_b32_e64 v16, v3, v82, s0
	ds_bpermute_b32 v83, v2, v44
	v_cndmask_b32_e64 v46, -v46, v46, s9
	s_waitcnt lgkmcnt(5)
	v_add_f32_e32 v37, v37, v49
	v_cndmask_b32_e64 v47, -v47, v47, s9
	v_lshlrev_b32_e32 v16, 2, v16
	v_cndmask_b32_e64 v49, -v52, v52, s9
	v_dual_add_f32 v43, v43, v85 :: v_dual_and_b32 v84, 4, v0
	ds_bpermute_b32 v82, v2, v48
	s_waitcnt lgkmcnt(4)
	v_add_f32_e32 v47, v47, v81
	ds_bpermute_b32 v85, v16, v45
	ds_bpermute_b32 v86, v16, v50
	s_waitcnt lgkmcnt(5)
	v_add_f32_e32 v49, v49, v78
	v_cmp_eq_u32_e64 s0, 0, v84
	v_cndmask_b32_e64 v51, -v51, v51, s9
	v_add_f32_e32 v46, v46, v80
	ds_bpermute_b32 v52, v16, v54
	ds_bpermute_b32 v80, v16, v55
	;; [unrolled: 1-line block ×3, first 2 shown]
	s_waitcnt lgkmcnt(7)
	v_add_f32_e32 v51, v51, v79
	ds_bpermute_b32 v84, v16, v58
	ds_bpermute_b32 v78, v16, v59
	;; [unrolled: 1-line block ×3, first 2 shown]
	v_cndmask_b32_e64 v44, -v44, v44, s9
	v_cndmask_b32_e64 v48, -v48, v48, s9
	;; [unrolled: 1-line block ×5, first 2 shown]
	s_waitcnt lgkmcnt(9)
	v_add_f32_e32 v44, v44, v83
	ds_bpermute_b32 v83, v16, v53
	s_waitcnt lgkmcnt(8)
	v_add_f32_e32 v45, v45, v85
	v_cndmask_b32_e64 v55, -v55, v55, s0
	v_cndmask_b32_e64 v56, -v56, v56, s0
	v_cndmask_b32_e64 v58, -v58, v58, s0
	s_waitcnt lgkmcnt(7)
	v_add_f32_e32 v50, v50, v86
	v_cndmask_b32_e64 v53, -v53, v53, s0
	v_add_f32_e32 v48, v48, v82
	ds_bpermute_b32 v82, v16, v57
	ds_bpermute_b32 v85, v16, v61
	s_waitcnt lgkmcnt(8)
	v_add_f32_e32 v52, v54, v52
	v_cndmask_b32_e64 v57, -v57, v57, s0
	s_waitcnt lgkmcnt(6)
	v_dual_add_f32 v54, v55, v80 :: v_dual_add_f32 v55, v56, v81
	s_waitcnt lgkmcnt(5)
	v_add_f32_e32 v56, v58, v84
	v_cndmask_b32_e64 v58, -v59, v59, s0
	v_cndmask_b32_e64 v59, -v60, v60, s0
	;; [unrolled: 1-line block ×3, first 2 shown]
	ds_bpermute_b32 v61, v16, v63
	ds_bpermute_b32 v86, v16, v6
	;; [unrolled: 1-line block ×4, first 2 shown]
	s_waitcnt lgkmcnt(7)
	v_add_f32_e32 v59, v59, v79
	v_cndmask_b32_e64 v7, -v7, v7, s0
	v_add_f32_e32 v58, v58, v78
	ds_bpermute_b32 v78, v16, v72
	ds_bpermute_b32 v79, v16, v8
	s_waitcnt lgkmcnt(8)
	v_add_f32_e32 v53, v53, v83
	ds_bpermute_b32 v83, v16, v11
	ds_bpermute_b32 v84, v16, v62
	v_cndmask_b32_e64 v63, -v63, v63, s0
	v_cndmask_b32_e64 v6, -v6, v6, s0
	v_cndmask_b32_e64 v4, -v4, v4, s0
	v_cndmask_b32_e64 v11, -v11, v11, s0
	s_waitcnt lgkmcnt(8)
	v_add_f32_e32 v60, v60, v85
	ds_bpermute_b32 v85, v16, v5
	v_cndmask_b32_e64 v8, -v8, v8, s0
	v_add_f32_e32 v57, v57, v82
	s_waitcnt lgkmcnt(8)
	v_add_f32_e32 v61, v63, v61
	v_cndmask_b32_e64 v63, -v72, v72, s0
	ds_bpermute_b32 v72, v16, v73
	ds_bpermute_b32 v82, v16, v13
	s_waitcnt lgkmcnt(7)
	v_dual_add_f32 v4, v4, v80 :: v_dual_add_f32 v7, v7, v81
	v_cndmask_b32_e64 v5, -v5, v5, s0
	s_waitcnt lgkmcnt(6)
	v_add_f32_e32 v63, v63, v78
	v_add_f32_e32 v6, v6, v86
	ds_bpermute_b32 v86, v16, v15
	v_cndmask_b32_e64 v15, -v15, v15, s0
	ds_bpermute_b32 v80, v16, v10
	ds_bpermute_b32 v81, v16, v9
	s_waitcnt lgkmcnt(8)
	v_add_f32_e32 v8, v8, v79
	ds_bpermute_b32 v78, v16, v74
	ds_bpermute_b32 v79, v16, v12
	v_cndmask_b32_e64 v62, -v62, v62, s0
	s_waitcnt lgkmcnt(9)
	v_add_f32_e32 v11, v11, v83
	v_cndmask_b32_e64 v13, -v13, v13, s0
	ds_bpermute_b32 v83, v16, v17
	v_cndmask_b32_e64 v73, -v73, v73, s0
	s_waitcnt lgkmcnt(9)
	v_add_f32_e32 v62, v62, v84
	ds_bpermute_b32 v84, v16, v14
	s_waitcnt lgkmcnt(7)
	v_add_f32_e32 v13, v13, v82
	v_add_f32_e32 v5, v5, v85
	v_cndmask_b32_e64 v10, -v10, v10, s0
	v_cndmask_b32_e64 v9, -v9, v9, s0
	ds_bpermute_b32 v85, v16, v19
	v_cndmask_b32_e64 v12, -v12, v12, s0
	v_cndmask_b32_e64 v19, -v19, v19, s0
	v_add_f32_e32 v72, v73, v72
	v_cndmask_b32_e64 v73, -v74, v74, s0
	s_waitcnt lgkmcnt(7)
	v_add_f32_e32 v15, v15, v86
	ds_bpermute_b32 v82, v16, v20
	ds_bpermute_b32 v86, v16, v76
	s_waitcnt lgkmcnt(7)
	v_dual_add_f32 v10, v10, v80 :: v_dual_add_f32 v9, v9, v81
	v_cndmask_b32_e64 v74, -v76, v76, s0
	ds_bpermute_b32 v76, v16, v75
	ds_bpermute_b32 v80, v16, v18
	;; [unrolled: 1-line block ×3, first 2 shown]
	s_waitcnt lgkmcnt(8)
	v_dual_add_f32 v73, v73, v78 :: v_dual_add_f32 v12, v12, v79
	ds_bpermute_b32 v79, v16, v26
	v_cndmask_b32_e64 v17, -v17, v17, s0
	v_cndmask_b32_e64 v14, -v14, v14, s0
	ds_bpermute_b32 v78, v16, v24
	v_cndmask_b32_e64 v20, -v20, v20, s0
	v_cndmask_b32_e64 v75, -v75, v75, s0
	s_waitcnt lgkmcnt(8)
	v_dual_add_f32 v17, v17, v83 :: v_dual_add_f32 v14, v14, v84
	ds_bpermute_b32 v84, v16, v21
	v_cndmask_b32_e64 v18, -v18, v18, s0
	v_cndmask_b32_e64 v77, -v77, v77, s0
	;; [unrolled: 1-line block ×3, first 2 shown]
	ds_bpermute_b32 v83, v16, v23
	s_waitcnt lgkmcnt(8)
	v_dual_add_f32 v20, v20, v82 :: v_dual_add_f32 v19, v19, v85
	s_waitcnt lgkmcnt(6)
	v_add_f32_e32 v75, v75, v76
	v_cndmask_b32_e64 v23, -v23, v23, s0
	v_add_f32_e32 v74, v74, v86
	ds_bpermute_b32 v82, v16, v29
	ds_bpermute_b32 v85, v16, v25
	;; [unrolled: 1-line block ×3, first 2 shown]
	v_cndmask_b32_e64 v29, -v29, v29, s0
	s_waitcnt lgkmcnt(8)
	v_add_f32_e32 v18, v18, v80
	ds_bpermute_b32 v80, v16, v22
	v_cndmask_b32_e64 v25, -v25, v25, s0
	v_cndmask_b32_e64 v27, -v27, v27, s0
	s_waitcnt lgkmcnt(8)
	v_add_f32_e32 v76, v77, v81
	ds_bpermute_b32 v77, v16, v31
	ds_bpermute_b32 v81, v16, v33
	s_waitcnt lgkmcnt(9)
	v_add_f32_e32 v26, v26, v79
	ds_bpermute_b32 v79, v16, v36
	v_cndmask_b32_e64 v21, -v21, v21, s0
	v_cndmask_b32_e64 v24, -v24, v24, s0
	;; [unrolled: 1-line block ×5, first 2 shown]
	s_waitcnt lgkmcnt(8)
	v_dual_add_f32 v21, v21, v84 :: v_dual_add_f32 v24, v24, v78
	ds_bpermute_b32 v78, v16, v30
	v_cndmask_b32_e64 v36, -v36, v36, s0
	s_waitcnt lgkmcnt(8)
	v_add_f32_e32 v23, v23, v83
	ds_bpermute_b32 v83, v16, v28
	s_waitcnt lgkmcnt(8)
	v_add_f32_e32 v29, v29, v82
	s_waitcnt lgkmcnt(7)
	v_add_f32_e32 v25, v25, v85
	ds_bpermute_b32 v82, v16, v32
	v_cndmask_b32_e64 v28, -v28, v28, s0
	ds_bpermute_b32 v85, v16, v39
	s_waitcnt lgkmcnt(6)
	v_dual_add_f32 v31, v31, v77 :: v_dual_add_f32 v22, v22, v80
	s_waitcnt lgkmcnt(5)
	v_add_f32_e32 v33, v33, v81
	ds_bpermute_b32 v80, v16, v34
	ds_bpermute_b32 v81, v16, v43
	v_cndmask_b32_e64 v39, -v39, v39, s0
	s_waitcnt lgkmcnt(6)
	v_add_f32_e32 v36, v36, v79
	ds_bpermute_b32 v79, v16, v37
	v_cndmask_b32_e64 v30, -v30, v30, s0
	ds_bpermute_b32 v84, v16, v35
	ds_bpermute_b32 v77, v16, v38
	v_cndmask_b32_e64 v35, -v35, v35, s0
	v_cndmask_b32_e64 v32, -v32, v32, s0
	s_waitcnt lgkmcnt(8)
	v_add_f32_e32 v30, v30, v78
	ds_bpermute_b32 v78, v16, v41
	v_cndmask_b32_e64 v34, -v34, v34, s0
	v_cndmask_b32_e64 v43, -v43, v43, s0
	;; [unrolled: 1-line block ×3, first 2 shown]
	s_waitcnt lgkmcnt(7)
	v_add_f32_e32 v32, v32, v82
	v_dual_add_f32 v27, v27, v86 :: v_dual_add_f32 v28, v28, v83
	ds_bpermute_b32 v83, v16, v40
	ds_bpermute_b32 v86, v16, v42
	s_waitcnt lgkmcnt(6)
	v_dual_add_f32 v34, v34, v80 :: v_dual_add_f32 v43, v43, v81
	v_xor_b32_e32 v81, 8, v3
	v_cndmask_b32_e64 v38, -v38, v38, s0
	s_waitcnt lgkmcnt(5)
	v_add_f32_e32 v37, v37, v79
	ds_bpermute_b32 v79, v16, v51
	v_cndmask_b32_e64 v41, -v41, v41, s0
	v_cmp_gt_i32_e64 s10, 32, v81
	s_waitcnt lgkmcnt(4)
	v_add_f32_e32 v38, v38, v77
	ds_bpermute_b32 v77, v16, v46
	ds_bpermute_b32 v80, v16, v47
	s_waitcnt lgkmcnt(5)
	v_add_f32_e32 v41, v41, v78
	v_cndmask_b32_e64 v78, v3, v81, s10
	v_cndmask_b32_e64 v51, -v51, v51, s0
	v_add_f32_e32 v35, v35, v84
	v_add_f32_e32 v39, v39, v85
	v_cndmask_b32_e64 v40, -v40, v40, s0
	v_lshlrev_b32_e32 v78, 2, v78
	v_cndmask_b32_e64 v42, -v42, v42, s0
	ds_bpermute_b32 v82, v16, v44
	v_cndmask_b32_e64 v46, -v46, v46, s0
	v_cndmask_b32_e64 v47, -v47, v47, s0
	s_waitcnt lgkmcnt(5)
	v_add_f32_e32 v40, v40, v83
	ds_bpermute_b32 v83, v16, v49
	v_cndmask_b32_e64 v49, -v49, v49, s0
	s_waitcnt lgkmcnt(4)
	v_add_f32_e32 v51, v51, v79
	ds_bpermute_b32 v85, v78, v45
	v_and_b32_e32 v84, 8, v0
	v_add_f32_e32 v42, v42, v86
	ds_bpermute_b32 v81, v16, v48
	ds_bpermute_b32 v86, v78, v50
	;; [unrolled: 1-line block ×3, first 2 shown]
	v_cmp_eq_u32_e64 s10, 0, v84
	s_waitcnt lgkmcnt(6)
	v_add_f32_e32 v47, v47, v80
	ds_bpermute_b32 v80, v78, v55
	v_cndmask_b32_e64 v44, -v44, v44, s0
	v_cndmask_b32_e64 v48, -v48, v48, s0
	v_cndmask_b32_e64 v55, -v55, v55, s10
	v_add_f32_e32 v46, v46, v77
	ds_bpermute_b32 v77, v78, v54
	v_cndmask_b32_e64 v50, -v50, v50, s10
	v_cndmask_b32_e64 v52, -v52, v52, s10
	;; [unrolled: 1-line block ×3, first 2 shown]
	ds_bpermute_b32 v79, v78, v59
	v_cndmask_b32_e64 v59, -v59, v59, s10
	s_waitcnt lgkmcnt(8)
	v_add_f32_e32 v44, v44, v82
	ds_bpermute_b32 v82, v78, v53
	v_cndmask_b32_e64 v53, -v53, v53, s10
	s_waitcnt lgkmcnt(6)
	v_dual_add_f32 v49, v49, v83 :: v_dual_add_f32 v48, v48, v81
	ds_bpermute_b32 v81, v78, v57
	v_cndmask_b32_e64 v57, -v57, v57, s10
	s_waitcnt lgkmcnt(6)
	v_add_f32_e32 v50, v50, v86
	ds_bpermute_b32 v86, v78, v6
	ds_bpermute_b32 v83, v78, v56
	;; [unrolled: 1-line block ×3, first 2 shown]
	s_waitcnt lgkmcnt(7)
	v_add_f32_e32 v55, v55, v80
	v_cndmask_b32_e64 v6, -v6, v6, s10
	v_add_f32_e32 v52, v52, v87
	ds_bpermute_b32 v87, v78, v61
	v_cndmask_b32_e64 v61, -v61, v61, s10
	s_waitcnt lgkmcnt(7)
	v_add_f32_e32 v54, v54, v77
	ds_bpermute_b32 v77, v78, v4
	ds_bpermute_b32 v80, v78, v7
	v_cndmask_b32_e64 v45, -v45, v45, s10
	v_cndmask_b32_e64 v56, -v56, v56, s10
	;; [unrolled: 1-line block ×3, first 2 shown]
	s_waitcnt lgkmcnt(8)
	v_add_f32_e32 v59, v59, v79
	v_cndmask_b32_e64 v4, -v4, v4, s10
	v_add_f32_e32 v45, v45, v85
	ds_bpermute_b32 v85, v78, v60
	s_waitcnt lgkmcnt(7)
	v_add_f32_e32 v57, v57, v81
	ds_bpermute_b32 v81, v78, v13
	s_waitcnt lgkmcnt(7)
	v_add_f32_e32 v79, v6, v86
	v_cndmask_b32_e64 v6, -v7, v7, s10
	s_waitcnt lgkmcnt(5)
	v_dual_add_f32 v58, v58, v84 :: v_dual_add_f32 v53, v53, v82
	v_cndmask_b32_e64 v60, -v60, v60, s10
	ds_bpermute_b32 v82, v78, v11
	ds_bpermute_b32 v84, v78, v63
	v_cndmask_b32_e64 v7, -v11, v11, s10
	v_cndmask_b32_e64 v11, -v62, v62, s10
	s_waitcnt lgkmcnt(5)
	v_add_f32_e32 v77, v4, v77
	v_cndmask_b32_e64 v4, -v8, v8, s10
	s_waitcnt lgkmcnt(4)
	v_add_f32_e32 v80, v6, v80
	v_cndmask_b32_e64 v6, -v13, v13, s10
	v_add_f32_e32 v56, v56, v83
	ds_bpermute_b32 v83, v78, v62
	ds_bpermute_b32 v86, v78, v15
	v_cndmask_b32_e64 v62, -v63, v63, s10
	s_waitcnt lgkmcnt(5)
	v_add_f32_e32 v60, v60, v85
	ds_bpermute_b32 v85, v78, v5
	ds_bpermute_b32 v63, v78, v8
	;; [unrolled: 1-line block ×3, first 2 shown]
	v_add_f32_e32 v61, v61, v87
	ds_bpermute_b32 v87, v78, v72
	v_cndmask_b32_e64 v5, -v5, v5, s10
	v_cndmask_b32_e64 v8, -v72, v72, s10
	s_waitcnt lgkmcnt(7)
	v_add_f32_e32 v82, v7, v82
	v_cndmask_b32_e64 v7, -v15, v15, s10
	ds_bpermute_b32 v15, v78, v17
	s_waitcnt lgkmcnt(7)
	v_add_f32_e32 v62, v62, v84
	ds_bpermute_b32 v72, v78, v14
	ds_bpermute_b32 v84, v78, v73
	v_add_f32_e32 v81, v6, v81
	v_cndmask_b32_e64 v6, -v17, v17, s10
	ds_bpermute_b32 v17, v78, v74
	s_waitcnt lgkmcnt(9)
	v_add_f32_e32 v83, v11, v83
	ds_bpermute_b32 v11, v78, v10
	s_waitcnt lgkmcnt(0)
	s_barrier
	v_add_f32_e32 v85, v5, v85
	v_cndmask_b32_e64 v5, -v9, v9, s10
	v_add_f32_e32 v86, v7, v86
	v_cndmask_b32_e64 v7, -v14, v14, s10
	ds_bpermute_b32 v14, v78, v19
	v_add_f32_e32 v63, v4, v63
	v_add_f32_e32 v89, v5, v13
	v_cndmask_b32_e64 v4, -v10, v10, s10
	ds_bpermute_b32 v10, v78, v20
	ds_bpermute_b32 v9, v78, v12
	v_cndmask_b32_e64 v5, -v20, v20, s10
	v_add_f32_e32 v87, v8, v87
	v_cndmask_b32_e64 v8, -v73, v73, s10
	ds_bpermute_b32 v73, v78, v75
	v_dual_add_f32 v15, v6, v15 :: v_dual_add_f32 v72, v7, v72
	v_cndmask_b32_e64 v6, -v19, v19, s10
	v_add_f32_e32 v88, v4, v11
	v_cndmask_b32_e64 v4, -v12, v12, s10
	ds_bpermute_b32 v12, v78, v76
	ds_bpermute_b32 v11, v78, v18
	;; [unrolled: 1-line block ×3, first 2 shown]
	v_cndmask_b32_e64 v7, -v74, v74, s10
	v_add_f32_e32 v84, v8, v84
	v_cndmask_b32_e64 v8, -v75, v75, s10
	ds_bpermute_b32 v19, v78, v21
	ds_bpermute_b32 v20, v78, v24
	s_waitcnt lgkmcnt(8)
	v_dual_add_f32 v91, v7, v17 :: v_dual_add_f32 v90, v6, v14
	ds_bpermute_b32 v14, v78, v25
	s_waitcnt lgkmcnt(8)
	v_add_f32_e32 v75, v5, v10
	v_cndmask_b32_e64 v5, -v76, v76, s10
	v_cndmask_b32_e64 v6, -v23, v23, s10
	s_waitcnt lgkmcnt(6)
	v_add_f32_e32 v73, v8, v73
	ds_bpermute_b32 v10, v78, v29
	v_cndmask_b32_e64 v7, -v21, v21, s10
	v_cndmask_b32_e64 v8, -v24, v24, s10
	ds_bpermute_b32 v17, v78, v27
	s_waitcnt lgkmcnt(0)
	buffer_gl0_inv
	v_add_f32_e32 v92, v5, v12
	v_cndmask_b32_e64 v5, -v29, v29, s10
	v_add_f32_e32 v74, v4, v9
	v_cndmask_b32_e64 v4, -v18, v18, s10
	ds_bpermute_b32 v9, v78, v26
	ds_bpermute_b32 v18, v78, v31
	v_add_f32_e32 v93, v6, v13
	v_cndmask_b32_e64 v6, -v25, v25, s10
	v_add_f32_e32 v76, v4, v11
	ds_bpermute_b32 v13, v78, v28
	v_dual_add_f32 v94, v7, v19 :: v_dual_add_f32 v95, v8, v20
	v_cndmask_b32_e64 v7, -v27, v27, s10
	ds_bpermute_b32 v20, v78, v36
	v_add_f32_e32 v96, v6, v14
	ds_bpermute_b32 v14, v78, v38
	ds_bpermute_b32 v12, v78, v33
	v_cndmask_b32_e64 v4, -v26, v26, s10
	v_add_f32_e32 v97, v7, v17
	v_cndmask_b32_e64 v8, -v31, v31, s10
	ds_bpermute_b32 v11, v78, v22
	ds_bpermute_b32 v19, v78, v30
	v_cndmask_b32_e64 v6, -v28, v28, s10
	v_add_f32_e32 v31, v5, v10
	s_waitcnt lgkmcnt(7)
	v_add_f32_e32 v29, v4, v9
	v_cndmask_b32_e64 v5, -v33, v33, s10
	s_waitcnt lgkmcnt(6)
	v_add_f32_e32 v98, v8, v18
	v_cndmask_b32_e64 v7, -v30, v30, s10
	ds_bpermute_b32 v8, v78, v32
	ds_bpermute_b32 v9, v78, v35
	;; [unrolled: 1-line block ×3, first 2 shown]
	v_cndmask_b32_e64 v18, -v36, v36, s10
	s_waitcnt lgkmcnt(8)
	v_add_f32_e32 v100, v6, v13
	v_cndmask_b32_e64 v13, -v38, v38, s10
	v_cndmask_b32_e64 v4, -v22, v22, s10
	ds_bpermute_b32 v17, v78, v34
	s_waitcnt lgkmcnt(8)
	v_add_f32_e32 v102, v18, v20
	s_waitcnt lgkmcnt(6)
	v_add_f32_e32 v99, v5, v12
	v_add_f32_e32 v105, v13, v14
	v_xor_b32_e32 v13, 16, v3
	ds_bpermute_b32 v5, v78, v43
	s_waitcnt lgkmcnt(5)
	v_add_f32_e32 v101, v7, v19
	v_cndmask_b32_e64 v6, -v35, v35, s10
	v_add_f32_e32 v30, v4, v11
	v_cmp_gt_i32_e64 s11, 32, v13
	v_cndmask_b32_e64 v4, -v32, v32, s10
	ds_bpermute_b32 v7, v78, v40
	ds_bpermute_b32 v11, v78, v42
	v_cndmask_b32_e64 v12, -v39, v39, s10
	s_waitcnt lgkmcnt(5)
	v_add_f32_e32 v103, v6, v9
	ds_bpermute_b32 v18, v78, v41
	v_cndmask_b32_e64 v3, v3, v13, s11
	v_add_f32_e32 v32, v4, v8
	ds_bpermute_b32 v9, v78, v37
	v_cndmask_b32_e64 v4, -v43, v43, s10
	v_cndmask_b32_e64 v19, -v34, v34, s10
	v_lshlrev_b32_e32 v111, 2, v3
	ds_bpermute_b32 v3, v78, v44
	s_waitcnt lgkmcnt(7)
	v_add_f32_e32 v104, v12, v10
	ds_bpermute_b32 v12, v78, v47
	ds_bpermute_b32 v10, v78, v46
	v_cndmask_b32_e64 v6, -v40, v40, s10
	v_cndmask_b32_e64 v8, -v42, v42, s10
	s_waitcnt lgkmcnt(7)
	v_add_f32_e32 v107, v4, v5
	v_cndmask_b32_e64 v4, -v41, v41, s10
	v_add_f32_e32 v106, v19, v17
	s_waitcnt lgkmcnt(6)
	v_add_f32_e32 v108, v6, v7
	s_waitcnt lgkmcnt(5)
	v_add_f32_e32 v109, v8, v11
	v_cndmask_b32_e64 v6, -v47, v47, s10
	ds_bpermute_b32 v7, v78, v49
	ds_bpermute_b32 v8, v78, v51
	s_waitcnt lgkmcnt(6)
	v_add_f32_e32 v110, v4, v18
	v_cndmask_b32_e64 v4, -v37, v37, s10
	ds_bpermute_b32 v13, v111, v45
	v_cndmask_b32_e64 v5, -v46, v46, s10
	ds_bpermute_b32 v11, v78, v48
	ds_bpermute_b32 v14, v111, v52
	s_waitcnt lgkmcnt(8)
	v_add_f32_e32 v112, v4, v9
	v_and_b32_e32 v4, 16, v0
	s_waitcnt lgkmcnt(6)
	v_add_f32_e32 v114, v6, v12
	ds_bpermute_b32 v12, v111, v50
	ds_bpermute_b32 v17, v111, v54
	;; [unrolled: 1-line block ×3, first 2 shown]
	s_waitcnt lgkmcnt(8)
	v_add_f32_e32 v113, v5, v10
	v_cndmask_b32_e64 v5, -v44, v44, s10
	v_cndmask_b32_e64 v6, -v49, v49, s10
	;; [unrolled: 1-line block ×4, first 2 shown]
	v_cmp_eq_u32_e64 s10, 0, v4
	ds_bpermute_b32 v18, v111, v55
	v_add_f32_e32 v115, v5, v3
	s_waitcnt lgkmcnt(7)
	v_dual_add_f32 v116, v6, v7 :: v_dual_add_f32 v117, v9, v8
	v_cndmask_b32_e64 v4, -v45, v45, s10
	v_cndmask_b32_e64 v6, -v54, v54, s10
	;; [unrolled: 1-line block ×3, first 2 shown]
	ds_bpermute_b32 v9, v111, v56
	ds_bpermute_b32 v20, v111, v60
	s_waitcnt lgkmcnt(8)
	v_add_f32_e32 v3, v4, v13
	v_cndmask_b32_e64 v4, -v50, v50, s10
	ds_bpermute_b32 v13, v111, v57
	ds_bpermute_b32 v22, v111, v61
	s_waitcnt lgkmcnt(5)
	v_add_f32_e32 v8, v8, v19
	v_cndmask_b32_e64 v19, -v60, v60, s10
	v_add_f32_e32 v6, v6, v17
	v_cndmask_b32_e64 v17, -v59, v59, s10
	;; [unrolled: 2-line block ×3, first 2 shown]
	v_add_f32_e32 v118, v10, v11
	ds_bpermute_b32 v11, v111, v59
	ds_bpermute_b32 v10, v111, v58
	;; [unrolled: 1-line block ×3, first 2 shown]
	v_cndmask_b32_e64 v7, -v55, v55, s10
	ds_bpermute_b32 v27, v111, v62
	ds_bpermute_b32 v33, v111, v81
	v_cndmask_b32_e64 v5, -v52, v52, s10
	s_waitcnt lgkmcnt(8)
	v_add_f32_e32 v9, v12, v9
	v_add_f32_e32 v7, v7, v18
	v_cndmask_b32_e64 v18, -v57, v57, s10
	ds_bpermute_b32 v21, v111, v79
	ds_bpermute_b32 v23, v111, v77
	;; [unrolled: 1-line block ×5, first 2 shown]
	v_add_f32_e32 v5, v5, v14
	v_cndmask_b32_e64 v14, -v58, v58, s10
	ds_bpermute_b32 v26, v111, v83
	s_waitcnt lgkmcnt(12)
	v_dual_add_f32 v12, v18, v13 :: v_dual_add_f32 v13, v19, v20
	s_waitcnt lgkmcnt(10)
	v_add_f32_e32 v11, v17, v11
	v_cndmask_b32_e64 v17, -v61, v61, s10
	v_cndmask_b32_e64 v19, -v80, v80, s10
	ds_bpermute_b32 v28, v111, v63
	ds_bpermute_b32 v34, v111, v85
	;; [unrolled: 1-line block ×5, first 2 shown]
	s_waitcnt lgkmcnt(13)
	v_dual_add_f32 v10, v14, v10 :: v_dual_add_f32 v19, v19, v24
	v_add_f32_e32 v17, v17, v22
	v_cndmask_b32_e64 v22, -v62, v62, s10
	v_cndmask_b32_e64 v24, -v81, v81, s10
	ds_bpermute_b32 v35, v111, v86
	ds_bpermute_b32 v37, v111, v88
	;; [unrolled: 1-line block ×3, first 2 shown]
	v_cndmask_b32_e64 v14, -v79, v79, s10
	v_cndmask_b32_e64 v18, -v77, v77, s10
	;; [unrolled: 1-line block ×3, first 2 shown]
	s_waitcnt lgkmcnt(14)
	v_add_f32_e32 v24, v24, v33
	v_cndmask_b32_e64 v33, -v89, v89, s10
	v_add_f32_e32 v22, v22, v27
	v_cndmask_b32_e64 v27, -v87, v87, s10
	ds_bpermute_b32 v42, v111, v74
	ds_bpermute_b32 v44, v111, v90
	s_waitcnt lgkmcnt(11)
	v_add_f32_e32 v33, v33, v38
	ds_bpermute_b32 v45, v111, v91
	v_dual_add_f32 v20, v20, v25 :: v_dual_add_f32 v27, v27, v36
	v_cndmask_b32_e64 v25, -v85, v85, s10
	v_add_f32_e32 v18, v18, v23
	v_cndmask_b32_e64 v23, -v63, v63, s10
	v_add_f32_e32 v14, v14, v21
	v_cndmask_b32_e64 v21, -v83, v83, s10
	v_cndmask_b32_e64 v15, -v15, v15, s10
	;; [unrolled: 1-line block ×3, first 2 shown]
	s_waitcnt lgkmcnt(10)
	v_add_f32_e32 v23, v23, v28
	v_cndmask_b32_e64 v38, -v75, v75, s10
	ds_bpermute_b32 v47, v111, v76
	ds_bpermute_b32 v49, v111, v93
	;; [unrolled: 1-line block ×5, first 2 shown]
	v_add_f32_e32 v21, v21, v26
	s_waitcnt lgkmcnt(14)
	v_add_f32_e32 v25, v25, v34
	v_cndmask_b32_e64 v26, -v86, v86, s10
	v_cndmask_b32_e64 v28, -v88, v88, s10
	ds_bpermute_b32 v46, v111, v73
	ds_bpermute_b32 v48, v111, v92
	s_waitcnt lgkmcnt(13)
	v_add_f32_e32 v38, v38, v43
	v_cndmask_b32_e64 v43, -v92, v92, s10
	v_add_f32_e32 v36, v36, v41
	v_cndmask_b32_e64 v41, -v73, v73, s10
	;; [unrolled: 2-line block ×3, first 2 shown]
	ds_bpermute_b32 v55, v111, v97
	ds_bpermute_b32 v62, v111, v32
	v_cndmask_b32_e64 v39, -v90, v90, s10
	s_waitcnt lgkmcnt(13)
	v_add_f32_e32 v28, v28, v37
	v_cndmask_b32_e64 v37, -v74, v74, s10
	s_waitcnt lgkmcnt(12)
	v_dual_add_f32 v26, v26, v35 :: v_dual_add_f32 v35, v15, v40
	v_cndmask_b32_e64 v15, -v91, v91, s10
	ds_bpermute_b32 v53, v111, v31
	s_waitcnt lgkmcnt(12)
	v_add_f32_e32 v37, v37, v42
	ds_bpermute_b32 v54, v111, v96
	ds_bpermute_b32 v60, v111, v101
	s_waitcnt lgkmcnt(13)
	v_add_f32_e32 v39, v39, v44
	v_cndmask_b32_e64 v42, -v76, v76, s10
	v_cndmask_b32_e64 v44, -v93, v93, s10
	ds_bpermute_b32 v51, v111, v95
	v_cndmask_b32_e64 v29, -v29, v29, s10
	s_waitcnt lgkmcnt(13)
	v_add_f32_e32 v40, v15, v45
	v_cndmask_b32_e64 v15, -v94, v94, s10
	ds_bpermute_b32 v56, v111, v98
	ds_bpermute_b32 v58, v111, v99
	;; [unrolled: 1-line block ×3, first 2 shown]
	v_cndmask_b32_e64 v30, -v30, v30, s10
	s_waitcnt lgkmcnt(14)
	v_add_f32_e32 v44, v44, v49
	v_cndmask_b32_e64 v49, -v96, v96, s10
	s_waitcnt lgkmcnt(13)
	v_dual_add_f32 v42, v42, v47 :: v_dual_add_f32 v45, v15, v50
	s_waitcnt lgkmcnt(12)
	v_add_f32_e32 v47, v29, v52
	v_cndmask_b32_e64 v15, -v97, v97, s10
	ds_bpermute_b32 v61, v111, v102
	s_waitcnt lgkmcnt(6)
	v_add_f32_e32 v49, v49, v54
	ds_bpermute_b32 v63, v111, v103
	v_add_f32_e32 v52, v30, v57
	v_cndmask_b32_e64 v30, -v32, v32, s10
	v_cndmask_b32_e64 v31, -v31, v31, s10
	ds_bpermute_b32 v57, v111, v107
	v_add_f32_e32 v41, v41, v46
	v_dual_add_f32 v43, v43, v48 :: v_dual_add_f32 v72, v30, v62
	v_cndmask_b32_e64 v62, -v107, v107, s10
	v_add_f32_e32 v50, v15, v55
	v_cndmask_b32_e64 v15, -v101, v101, s10
	v_cndmask_b32_e64 v46, -v95, v95, s10
	v_add_f32_e32 v48, v31, v53
	v_cndmask_b32_e64 v29, -v98, v98, s10
	v_cndmask_b32_e64 v31, -v99, v99, s10
	;; [unrolled: 1-line block ×3, first 2 shown]
	ds_bpermute_b32 v32, v111, v106
	s_waitcnt lgkmcnt(8)
	v_add_f32_e32 v55, v15, v60
	ds_bpermute_b32 v15, v111, v109
	s_waitcnt lgkmcnt(6)
	v_dual_add_f32 v46, v46, v51 :: v_dual_add_f32 v53, v31, v58
	ds_bpermute_b32 v74, v111, v104
	v_add_f32_e32 v51, v29, v56
	v_cndmask_b32_e64 v29, -v102, v102, s10
	ds_bpermute_b32 v31, v111, v105
	v_cndmask_b32_e64 v58, -v103, v103, s10
	ds_bpermute_b32 v30, v111, v112
	s_waitcnt lgkmcnt(8)
	v_add_f32_e32 v54, v54, v59
	ds_bpermute_b32 v59, v111, v108
	ds_bpermute_b32 v83, v111, v114
	s_waitcnt lgkmcnt(8)
	v_add_f32_e32 v73, v58, v63
	v_cndmask_b32_e64 v58, -v105, v105, s10
	v_add_f32_e32 v56, v29, v61
	ds_bpermute_b32 v29, v111, v110
	v_cndmask_b32_e64 v61, -v106, v106, s10
	s_waitcnt lgkmcnt(8)
	v_add_f32_e32 v77, v62, v57
	v_cndmask_b32_e64 v57, -v109, v109, s10
	v_cndmask_b32_e64 v75, -v104, v104, s10
	v_cndmask_b32_e64 v63, -v108, v108, s10
	ds_bpermute_b32 v60, v111, v113
	v_cndmask_b32_e64 v62, -v113, v113, s10
	s_waitcnt lgkmcnt(7)
	v_add_f32_e32 v79, v57, v15
	v_cndmask_b32_e64 v15, -v114, v114, s10
	v_add_f32_e32 v76, v61, v32
	ds_bpermute_b32 v32, v111, v116
	s_waitcnt lgkmcnt(6)
	v_dual_add_f32 v74, v75, v74 :: v_dual_add_f32 v75, v58, v31
	v_cndmask_b32_e64 v58, -v110, v110, s10
	s_waitcnt lgkmcnt(4)
	v_add_f32_e32 v78, v63, v59
	v_cndmask_b32_e64 v59, -v112, v112, s10
	s_waitcnt lgkmcnt(3)
	v_add_f32_e32 v83, v15, v83
	v_cndmask_b32_e64 v15, -v116, v116, s10
	ds_bpermute_b32 v31, v111, v115
	s_waitcnt lgkmcnt(3)
	v_dual_add_f32 v80, v58, v29 :: v_dual_add_f32 v81, v59, v30
	v_and_b32_e32 v29, 7, v0
	v_lshrrev_b32_e32 v30, 3, v0
	v_lshrrev_b32_e32 v58, 5, v0
	ds_bpermute_b32 v61, v111, v117
	s_waitcnt lgkmcnt(3)
	v_add_f32_e32 v82, v62, v60
	v_cndmask_b32_e64 v57, -v115, v115, s10
	v_lshl_or_b32 v30, v29, 5, v30
	v_xor_b32_e32 v0, v58, v0
	s_waitcnt lgkmcnt(2)
	v_add_f32_e32 v85, v15, v32
	s_delay_alu instid0(VALU_DEP_3) | instskip(NEXT) | instid1(VALU_DEP_3)
	v_xor_b32_e32 v15, v30, v29
	v_lshl_add_u32 v60, v0, 4, 0
	ds_store_b128 v60, v[3:6]
	ds_store_b128 v60, v[7:10] offset:4096
	ds_store_b128 v60, v[11:14] offset:8192
	;; [unrolled: 1-line block ×7, first 2 shown]
	v_lshl_add_u32 v32, v15, 4, 0
	s_waitcnt lgkmcnt(0)
	s_barrier
	buffer_gl0_inv
	ds_bpermute_b32 v29, v111, v118
	ds_load_b128 v[3:6], v32
	ds_load_b128 v[7:10], v32 offset:4096
	ds_load_b128 v[11:14], v32 offset:8192
	;; [unrolled: 1-line block ×7, first 2 shown]
	v_add_f32_e32 v84, v57, v31
	v_cndmask_b32_e64 v31, -v117, v117, s10
	v_cndmask_b32_e64 v30, -v118, v118, s10
	s_waitcnt lgkmcnt(0)
	s_barrier
	buffer_gl0_inv
	s_mul_i32 s10, s22, s15
	ds_bpermute_b32 v57, v1, v8
	ds_bpermute_b32 v58, v1, v9
	ds_bpermute_b32 v59, v1, v12
	ds_bpermute_b32 v62, v1, v14
	v_add_f32_e32 v87, v30, v29
	ds_bpermute_b32 v0, v1, v3
	ds_bpermute_b32 v15, v1, v4
	v_cndmask_b32_e64 v3, -v3, v3, s1
	v_cndmask_b32_e64 v4, -v4, v4, s1
	ds_bpermute_b32 v29, v1, v5
	ds_bpermute_b32 v30, v1, v6
	v_cndmask_b32_e64 v12, -v12, v12, s1
	v_cndmask_b32_e64 v14, -v14, v14, s1
	s_waitcnt lgkmcnt(2)
	v_dual_add_f32 v0, v3, v0 :: v_dual_add_f32 v3, v4, v15
	v_cndmask_b32_e64 v4, -v5, v5, s1
	v_cndmask_b32_e64 v5, -v6, v6, s1
	v_add_f32_e32 v86, v31, v61
	ds_bpermute_b32 v31, v1, v7
	v_cndmask_b32_e64 v6, -v7, v7, s1
	v_cndmask_b32_e64 v7, -v8, v8, s1
	s_waitcnt lgkmcnt(1)
	v_add_f32_e32 v5, v5, v30
	v_cndmask_b32_e64 v8, -v9, v9, s1
	ds_bpermute_b32 v9, v1, v10
	ds_bpermute_b32 v15, v1, v11
	;; [unrolled: 1-line block ×3, first 2 shown]
	v_cndmask_b32_e64 v10, -v10, v10, s1
	v_cndmask_b32_e64 v11, -v11, v11, s1
	ds_bpermute_b32 v30, v1, v18
	v_cndmask_b32_e64 v13, -v13, v13, s1
	v_add_f32_e32 v4, v4, v29
	v_add_f32_e32 v7, v7, v57
	ds_bpermute_b32 v29, v1, v17
	ds_bpermute_b32 v57, v1, v20
	ds_store_b128 v60, v[41:44]
	ds_store_b128 v60, v[45:48] offset:4096
	ds_store_b128 v60, v[49:52] offset:8192
	;; [unrolled: 1-line block ×7, first 2 shown]
	s_waitcnt lgkmcnt(0)
	s_barrier
	buffer_gl0_inv
	ds_load_b128 v[41:44], v32
	ds_load_b128 v[45:48], v32 offset:4096
	ds_load_b128 v[49:52], v32 offset:8192
	;; [unrolled: 1-line block ×7, first 2 shown]
	s_waitcnt lgkmcnt(0)
	s_barrier
	buffer_gl0_inv
	v_dual_add_f32 v9, v10, v9 :: v_dual_add_f32 v10, v11, v15
	v_cndmask_b32_e64 v15, -v18, v18, s1
	v_add_f32_e32 v6, v6, v31
	ds_bpermute_b32 v31, v1, v19
	v_dual_add_f32 v11, v12, v59 :: v_dual_add_f32 v12, v13, v61
	v_add_f32_e32 v13, v14, v62
	v_cndmask_b32_e64 v14, -v17, v17, s1
	v_cndmask_b32_e64 v17, -v19, v19, s1
	v_add_f32_e32 v8, v8, v58
	ds_bpermute_b32 v58, v1, v21
	v_cndmask_b32_e64 v18, -v20, v20, s1
	v_cndmask_b32_e64 v19, -v21, v21, s1
	ds_bpermute_b32 v20, v1, v22
	ds_bpermute_b32 v21, v1, v23
	;; [unrolled: 1-line block ×5, first 2 shown]
	v_cndmask_b32_e64 v22, -v22, v22, s1
	v_cndmask_b32_e64 v23, -v23, v23, s1
	;; [unrolled: 1-line block ×3, first 2 shown]
	v_dual_add_f32 v14, v14, v29 :: v_dual_add_f32 v15, v15, v30
	s_waitcnt lgkmcnt(6)
	v_add_f32_e32 v17, v17, v31
	ds_bpermute_b32 v31, v1, v33
	v_cndmask_b32_e64 v24, -v24, v24, s1
	v_cndmask_b32_e64 v26, -v26, v26, s1
	ds_bpermute_b32 v29, v1, v27
	ds_bpermute_b32 v30, v1, v28
	;; [unrolled: 1-line block ×3, first 2 shown]
	s_waitcnt lgkmcnt(9)
	v_add_f32_e32 v19, v19, v58
	ds_bpermute_b32 v58, v1, v35
	s_waitcnt lgkmcnt(8)
	v_dual_add_f32 v20, v22, v20 :: v_dual_add_f32 v21, v23, v21
	s_waitcnt lgkmcnt(7)
	v_add_f32_e32 v23, v25, v61
	v_cndmask_b32_e64 v25, -v27, v27, s1
	v_cndmask_b32_e64 v27, -v33, v33, s1
	v_add_f32_e32 v18, v18, v57
	ds_bpermute_b32 v57, v1, v34
	s_waitcnt lgkmcnt(7)
	v_add_f32_e32 v22, v24, v59
	v_cndmask_b32_e64 v33, -v35, v35, s1
	ds_bpermute_b32 v35, v1, v37
	ds_bpermute_b32 v61, v1, v39
	s_waitcnt lgkmcnt(7)
	v_add_f32_e32 v27, v27, v31
	v_cndmask_b32_e64 v31, -v37, v37, s1
	v_add_f32_e32 v24, v26, v62
	v_cndmask_b32_e64 v26, -v28, v28, s1
	v_cndmask_b32_e64 v28, -v34, v34, s1
	ds_bpermute_b32 v34, v1, v36
	ds_bpermute_b32 v62, v1, v40
	;; [unrolled: 1-line block ×3, first 2 shown]
	s_waitcnt lgkmcnt(9)
	v_add_f32_e32 v25, v25, v29
	s_waitcnt lgkmcnt(6)
	v_add_f32_e32 v29, v33, v58
	v_cndmask_b32_e64 v33, -v38, v38, s1
	v_add_f32_e32 v26, v26, v30
	v_cndmask_b32_e64 v30, -v36, v36, s1
	v_cndmask_b32_e64 v36, -v39, v39, s1
	;; [unrolled: 1-line block ×3, first 2 shown]
	s_waitcnt lgkmcnt(5)
	v_add_f32_e32 v28, v28, v57
	ds_bpermute_b32 v38, v1, v41
	ds_bpermute_b32 v39, v1, v42
	;; [unrolled: 1-line block ×5, first 2 shown]
	s_waitcnt lgkmcnt(9)
	v_add_f32_e32 v31, v31, v35
	s_waitcnt lgkmcnt(6)
	v_add_f32_e32 v35, v37, v62
	v_cndmask_b32_e64 v37, -v42, v42, s1
	v_add_f32_e32 v30, v30, v34
	v_cndmask_b32_e64 v42, -v44, v44, s1
	ds_bpermute_b32 v44, v1, v46
	v_add_f32_e32 v34, v36, v61
	v_cndmask_b32_e64 v36, -v41, v41, s1
	v_cndmask_b32_e64 v41, -v43, v43, s1
	;; [unrolled: 1-line block ×3, first 2 shown]
	ds_bpermute_b32 v45, v1, v47
	ds_bpermute_b32 v61, v1, v49
	;; [unrolled: 1-line block ×3, first 2 shown]
	s_waitcnt lgkmcnt(9)
	v_add_f32_e32 v33, v33, v59
	ds_bpermute_b32 v59, v1, v48
	s_waitcnt lgkmcnt(8)
	v_dual_add_f32 v36, v36, v38 :: v_dual_add_f32 v37, v37, v39
	s_waitcnt lgkmcnt(6)
	v_dual_add_f32 v39, v42, v57 :: v_dual_add_f32 v38, v41, v40
	v_cndmask_b32_e64 v41, -v46, v46, s1
	v_cndmask_b32_e64 v42, -v47, v47, s1
	v_cndmask_b32_e64 v46, -v49, v49, s1
	v_cndmask_b32_e64 v47, -v50, v50, s1
	ds_bpermute_b32 v49, v1, v52
	ds_bpermute_b32 v50, v1, v53
	;; [unrolled: 1-line block ×3, first 2 shown]
	s_waitcnt lgkmcnt(6)
	v_dual_add_f32 v41, v41, v44 :: v_dual_add_f32 v42, v42, v45
	s_waitcnt lgkmcnt(4)
	v_dual_add_f32 v44, v46, v61 :: v_dual_add_f32 v45, v47, v62
	v_cndmask_b32_e64 v47, -v52, v52, s1
	v_cndmask_b32_e64 v52, -v54, v54, s1
	v_add_f32_e32 v40, v43, v58
	v_cndmask_b32_e64 v43, -v48, v48, s1
	ds_bpermute_b32 v48, v1, v51
	ds_bpermute_b32 v58, v1, v55
	v_cndmask_b32_e64 v46, -v51, v51, s1
	v_cndmask_b32_e64 v51, -v53, v53, s1
	;; [unrolled: 1-line block ×3, first 2 shown]
	ds_bpermute_b32 v54, v1, v56
	ds_bpermute_b32 v55, v1, v72
	;; [unrolled: 1-line block ×4, first 2 shown]
	s_waitcnt lgkmcnt(9)
	v_add_f32_e32 v43, v43, v59
	ds_bpermute_b32 v59, v1, v73
	s_waitcnt lgkmcnt(9)
	v_add_f32_e32 v47, v47, v49
	s_waitcnt lgkmcnt(7)
	v_add_f32_e32 v49, v52, v57
	v_cndmask_b32_e64 v52, -v72, v72, s1
	v_cndmask_b32_e64 v57, -v75, v75, s1
	ds_bpermute_b32 v72, v1, v78
	ds_bpermute_b32 v75, v1, v81
	s_waitcnt lgkmcnt(8)
	v_add_f32_e32 v46, v46, v48
	v_add_f32_e32 v48, v51, v50
	v_cndmask_b32_e64 v51, -v56, v56, s1
	v_cndmask_b32_e64 v56, -v74, v74, s1
	ds_bpermute_b32 v74, v1, v80
	s_waitcnt lgkmcnt(6)
	v_dual_add_f32 v52, v52, v55 :: v_dual_add_f32 v51, v51, v54
	s_waitcnt lgkmcnt(4)
	v_dual_add_f32 v54, v56, v61 :: v_dual_add_f32 v55, v57, v62
	v_cndmask_b32_e64 v57, -v77, v77, s1
	v_cndmask_b32_e64 v61, -v79, v79, s1
	ds_bpermute_b32 v77, v1, v83
	v_cndmask_b32_e64 v56, -v76, v76, s1
	v_cndmask_b32_e64 v62, -v80, v80, s1
	v_add_f32_e32 v57, v57, v63
	v_cndmask_b32_e64 v63, -v82, v82, s1
	v_add_f32_e32 v50, v53, v58
	v_cndmask_b32_e64 v53, -v73, v73, s1
	ds_bpermute_b32 v58, v1, v76
	ds_bpermute_b32 v73, v1, v79
	;; [unrolled: 1-line block ×4, first 2 shown]
	s_waitcnt lgkmcnt(8)
	v_add_f32_e32 v53, v53, v59
	v_cndmask_b32_e64 v59, -v78, v78, s1
	ds_bpermute_b32 v78, v1, v84
	ds_bpermute_b32 v80, v1, v86
	;; [unrolled: 1-line block ×4, first 2 shown]
	v_cndmask_b32_e64 v3, -v3, v3, s9
	s_waitcnt lgkmcnt(7)
	v_add_f32_e32 v56, v56, v58
	s_waitcnt lgkmcnt(6)
	v_dual_add_f32 v58, v59, v72 :: v_dual_add_f32 v59, v61, v73
	v_cndmask_b32_e64 v72, -v83, v83, s1
	v_add_f32_e32 v61, v62, v74
	v_cndmask_b32_e64 v62, -v81, v81, s1
	v_cndmask_b32_e64 v73, -v84, v84, s1
	;; [unrolled: 1-line block ×3, first 2 shown]
	v_add_f32_e32 v72, v72, v77
	ds_bpermute_b32 v81, v2, v0
	ds_bpermute_b32 v83, v2, v4
	s_waitcnt lgkmcnt(5)
	v_dual_add_f32 v62, v62, v75 :: v_dual_add_f32 v73, v73, v78
	v_cndmask_b32_e64 v75, -v86, v86, s1
	v_add_f32_e32 v74, v74, v79
	ds_bpermute_b32 v77, v2, v5
	ds_bpermute_b32 v78, v2, v6
	;; [unrolled: 1-line block ×3, first 2 shown]
	s_waitcnt lgkmcnt(7)
	v_add_f32_e32 v75, v75, v80
	v_add_f32_e32 v63, v63, v76
	v_cndmask_b32_e64 v76, -v87, v87, s1
	v_cndmask_b32_e64 v0, -v0, v0, s9
	ds_bpermute_b32 v84, v2, v8
	v_cndmask_b32_e64 v4, -v4, v4, s9
	ds_bpermute_b32 v85, v2, v9
	s_waitcnt lgkmcnt(7)
	v_add_f32_e32 v3, v3, v82
	v_cndmask_b32_e64 v5, -v5, v5, s9
	v_cndmask_b32_e64 v6, -v6, v6, s9
	v_add_f32_e32 v1, v76, v1
	s_waitcnt lgkmcnt(6)
	v_add_f32_e32 v0, v0, v81
	v_cndmask_b32_e64 v7, -v7, v7, s9
	ds_bpermute_b32 v76, v2, v10
	ds_bpermute_b32 v80, v2, v11
	ds_bpermute_b32 v81, v2, v12
	ds_bpermute_b32 v82, v2, v13
	s_waitcnt lgkmcnt(8)
	v_dual_add_f32 v4, v4, v83 :: v_dual_add_f32 v5, v5, v77
	v_cndmask_b32_e64 v8, -v8, v8, s9
	ds_bpermute_b32 v83, v2, v14
	s_waitcnt lgkmcnt(7)
	v_dual_add_f32 v6, v6, v78 :: v_dual_add_f32 v7, v7, v79
	ds_bpermute_b32 v77, v2, v15
	s_waitcnt lgkmcnt(7)
	v_add_f32_e32 v8, v8, v84
	ds_bpermute_b32 v78, v2, v17
	ds_bpermute_b32 v79, v2, v18
	v_cndmask_b32_e64 v9, -v9, v9, s9
	v_cndmask_b32_e64 v10, -v10, v10, s9
	;; [unrolled: 1-line block ×5, first 2 shown]
	ds_bpermute_b32 v84, v2, v19
	s_waitcnt lgkmcnt(8)
	v_dual_add_f32 v9, v9, v85 :: v_dual_add_f32 v10, v10, v76
	v_cndmask_b32_e64 v14, -v14, v14, s9
	ds_bpermute_b32 v85, v2, v20
	s_waitcnt lgkmcnt(7)
	v_dual_add_f32 v11, v11, v80 :: v_dual_add_f32 v12, v12, v81
	s_waitcnt lgkmcnt(5)
	v_dual_add_f32 v13, v13, v82 :: v_dual_add_f32 v14, v14, v83
	v_cndmask_b32_e64 v15, -v15, v15, s9
	v_cndmask_b32_e64 v17, -v17, v17, s9
	;; [unrolled: 1-line block ×3, first 2 shown]
	ds_bpermute_b32 v76, v2, v21
	ds_bpermute_b32 v80, v2, v22
	;; [unrolled: 1-line block ×4, first 2 shown]
	v_cndmask_b32_e64 v20, -v20, v20, s9
	ds_bpermute_b32 v83, v2, v25
	s_waitcnt lgkmcnt(7)
	v_dual_add_f32 v15, v15, v77 :: v_dual_add_f32 v18, v18, v79
	v_add_f32_e32 v17, v17, v78
	ds_bpermute_b32 v77, v2, v26
	ds_bpermute_b32 v78, v2, v27
	;; [unrolled: 1-line block ×3, first 2 shown]
	s_waitcnt lgkmcnt(8)
	v_add_f32_e32 v20, v20, v85
	v_cndmask_b32_e64 v19, -v19, v19, s9
	v_cndmask_b32_e64 v21, -v21, v21, s9
	;; [unrolled: 1-line block ×5, first 2 shown]
	v_add_f32_e32 v19, v19, v84
	ds_bpermute_b32 v84, v2, v29
	v_cndmask_b32_e64 v25, -v25, v25, s9
	ds_bpermute_b32 v85, v2, v30
	s_waitcnt lgkmcnt(7)
	v_dual_add_f32 v22, v22, v80 :: v_dual_add_f32 v23, v23, v81
	s_waitcnt lgkmcnt(6)
	v_add_f32_e32 v24, v24, v82
	v_cndmask_b32_e64 v26, -v26, v26, s9
	v_add_f32_e32 v21, v21, v76
	v_cndmask_b32_e64 v27, -v27, v27, s9
	v_cndmask_b32_e64 v28, -v28, v28, s9
	ds_bpermute_b32 v76, v2, v31
	s_waitcnt lgkmcnt(5)
	v_add_f32_e32 v26, v26, v77
	ds_bpermute_b32 v80, v2, v33
	ds_bpermute_b32 v81, v2, v34
	ds_bpermute_b32 v82, v2, v35
	v_cndmask_b32_e64 v30, -v30, v30, s9
	v_add_f32_e32 v25, v25, v83
	ds_bpermute_b32 v83, v2, v36
	s_waitcnt lgkmcnt(7)
	v_dual_add_f32 v27, v27, v78 :: v_dual_add_f32 v28, v28, v79
	ds_bpermute_b32 v77, v2, v37
	ds_bpermute_b32 v78, v2, v38
	;; [unrolled: 1-line block ×3, first 2 shown]
	v_cndmask_b32_e64 v29, -v29, v29, s9
	v_cndmask_b32_e64 v31, -v31, v31, s9
	;; [unrolled: 1-line block ×5, first 2 shown]
	s_waitcnt lgkmcnt(9)
	v_add_f32_e32 v29, v29, v84
	ds_bpermute_b32 v84, v2, v40
	s_waitcnt lgkmcnt(9)
	v_add_f32_e32 v30, v30, v85
	v_cndmask_b32_e64 v36, -v36, v36, s9
	ds_bpermute_b32 v85, v2, v41
	s_waitcnt lgkmcnt(7)
	v_dual_add_f32 v34, v34, v81 :: v_dual_add_f32 v31, v31, v76
	s_waitcnt lgkmcnt(6)
	v_dual_add_f32 v76, v33, v80 :: v_dual_add_f32 v35, v35, v82
	v_cndmask_b32_e64 v33, -v37, v37, s9
	v_cndmask_b32_e64 v37, -v38, v38, s9
	;; [unrolled: 1-line block ×5, first 2 shown]
	ds_bpermute_b32 v41, v2, v42
	ds_bpermute_b32 v80, v2, v43
	;; [unrolled: 1-line block ×4, first 2 shown]
	s_waitcnt lgkmcnt(9)
	v_add_f32_e32 v36, v36, v83
	ds_bpermute_b32 v83, v2, v46
	s_waitcnt lgkmcnt(9)
	v_add_f32_e32 v77, v33, v77
	s_waitcnt lgkmcnt(7)
	v_dual_add_f32 v78, v37, v78 :: v_dual_add_f32 v79, v38, v79
	v_cndmask_b32_e64 v33, -v42, v42, s9
	v_cndmask_b32_e64 v37, -v43, v43, s9
	;; [unrolled: 1-line block ×5, first 2 shown]
	ds_bpermute_b32 v44, v2, v47
	ds_bpermute_b32 v45, v2, v48
	;; [unrolled: 1-line block ×3, first 2 shown]
	s_waitcnt lgkmcnt(8)
	v_dual_add_f32 v39, v39, v84 :: v_dual_add_f32 v40, v40, v85
	ds_bpermute_b32 v84, v2, v50
	ds_bpermute_b32 v85, v2, v51
	s_waitcnt lgkmcnt(7)
	v_dual_add_f32 v80, v37, v80 :: v_dual_add_f32 v81, v38, v81
	s_waitcnt lgkmcnt(6)
	v_add_f32_e32 v82, v42, v82
	v_cndmask_b32_e64 v37, -v48, v48, s9
	v_cndmask_b32_e64 v38, -v49, v49, s9
	;; [unrolled: 1-line block ×3, first 2 shown]
	v_add_f32_e32 v41, v33, v41
	v_cndmask_b32_e64 v33, -v47, v47, s9
	ds_bpermute_b32 v47, v2, v52
	ds_bpermute_b32 v48, v2, v53
	;; [unrolled: 1-line block ×4, first 2 shown]
	s_waitcnt lgkmcnt(8)
	v_dual_add_f32 v83, v43, v83 :: v_dual_add_f32 v44, v33, v44
	v_cndmask_b32_e64 v43, -v51, v51, s9
	ds_bpermute_b32 v51, v2, v56
	s_waitcnt lgkmcnt(7)
	v_dual_add_f32 v86, v37, v45 :: v_dual_add_f32 v87, v38, v46
	v_cndmask_b32_e64 v33, -v52, v52, s9
	v_cndmask_b32_e64 v37, -v53, v53, s9
	ds_bpermute_b32 v45, v2, v57
	ds_bpermute_b32 v46, v2, v58
	ds_bpermute_b32 v52, v2, v59
	ds_bpermute_b32 v53, v2, v61
	s_waitcnt lgkmcnt(10)
	v_add_f32_e32 v84, v42, v84
	v_cndmask_b32_e64 v38, -v54, v54, s9
	v_cndmask_b32_e64 v42, -v55, v55, s9
	s_waitcnt lgkmcnt(9)
	v_add_f32_e32 v85, v43, v85
	v_cndmask_b32_e64 v43, -v56, v56, s9
	s_waitcnt lgkmcnt(7)
	v_add_f32_e32 v56, v37, v48
	ds_bpermute_b32 v54, v2, v62
	s_waitcnt lgkmcnt(7)
	v_dual_add_f32 v55, v33, v47 :: v_dual_add_f32 v88, v38, v49
	s_waitcnt lgkmcnt(6)
	v_add_f32_e32 v89, v42, v50
	v_cndmask_b32_e64 v33, -v57, v57, s9
	s_waitcnt lgkmcnt(5)
	v_add_f32_e32 v90, v43, v51
	v_cndmask_b32_e64 v37, -v58, v58, s9
	v_cndmask_b32_e64 v38, -v59, v59, s9
	;; [unrolled: 1-line block ×4, first 2 shown]
	ds_bpermute_b32 v47, v2, v63
	ds_bpermute_b32 v48, v2, v72
	;; [unrolled: 1-line block ×5, first 2 shown]
	s_waitcnt lgkmcnt(9)
	v_add_f32_e32 v57, v33, v45
	s_waitcnt lgkmcnt(7)
	v_dual_add_f32 v58, v37, v46 :: v_dual_add_f32 v59, v38, v52
	v_cndmask_b32_e64 v37, -v72, v72, s9
	s_waitcnt lgkmcnt(6)
	v_add_f32_e32 v61, v42, v53
	ds_bpermute_b32 v2, v2, v1
	ds_bpermute_b32 v45, v16, v0
	;; [unrolled: 1-line block ×5, first 2 shown]
	s_waitcnt lgkmcnt(10)
	v_add_f32_e32 v62, v43, v54
	v_cndmask_b32_e64 v33, -v63, v63, s9
	v_cndmask_b32_e64 v38, -v73, v73, s9
	;; [unrolled: 1-line block ×5, first 2 shown]
	s_waitcnt lgkmcnt(8)
	v_add_f32_e32 v72, v37, v48
	v_cndmask_b32_e64 v0, -v0, v0, s0
	v_cndmask_b32_e64 v3, -v3, v3, s0
	;; [unrolled: 1-line block ×4, first 2 shown]
	v_add_f32_e32 v63, v33, v47
	s_waitcnt lgkmcnt(5)
	v_dual_add_f32 v73, v38, v49 :: v_dual_add_f32 v92, v43, v51
	v_add_f32_e32 v91, v42, v50
	ds_bpermute_b32 v33, v16, v6
	ds_bpermute_b32 v37, v16, v7
	;; [unrolled: 1-line block ×5, first 2 shown]
	s_waitcnt lgkmcnt(8)
	v_dual_add_f32 v93, v1, v2 :: v_dual_add_f32 v0, v0, v45
	s_waitcnt lgkmcnt(6)
	v_add_f32_e32 v2, v4, v52
	v_cndmask_b32_e64 v4, -v6, v6, s0
	v_cndmask_b32_e64 v6, -v8, v8, s0
	;; [unrolled: 1-line block ×3, first 2 shown]
	v_add_f32_e32 v1, v3, v46
	s_waitcnt lgkmcnt(5)
	v_add_f32_e32 v3, v5, v53
	v_cndmask_b32_e64 v5, -v7, v7, s0
	v_cndmask_b32_e64 v7, -v9, v9, s0
	ds_bpermute_b32 v9, v16, v11
	ds_bpermute_b32 v10, v16, v12
	;; [unrolled: 1-line block ×5, first 2 shown]
	v_cndmask_b32_e64 v11, -v11, v11, s0
	v_cndmask_b32_e64 v12, -v12, v12, s0
	s_waitcnt lgkmcnt(7)
	v_add_f32_e32 v6, v6, v38
	v_cndmask_b32_e64 v13, -v13, v13, s0
	v_cndmask_b32_e64 v14, -v14, v14, s0
	;; [unrolled: 1-line block ×3, first 2 shown]
	v_add_f32_e32 v4, v4, v33
	s_waitcnt lgkmcnt(5)
	v_dual_add_f32 v5, v5, v37 :: v_dual_add_f32 v8, v8, v43
	ds_bpermute_b32 v33, v16, v17
	ds_bpermute_b32 v37, v16, v18
	;; [unrolled: 1-line block ×6, first 2 shown]
	s_waitcnt lgkmcnt(9)
	v_dual_add_f32 v9, v11, v9 :: v_dual_add_f32 v10, v12, v10
	ds_bpermute_b32 v52, v16, v41
	s_waitcnt lgkmcnt(8)
	v_add_f32_e32 v12, v14, v46
	v_cndmask_b32_e64 v14, -v17, v17, s0
	v_add_f32_e32 v7, v7, v42
	ds_bpermute_b32 v42, v16, v20
	v_add_f32_e32 v11, v13, v45
	s_waitcnt lgkmcnt(8)
	v_add_f32_e32 v13, v15, v47
	v_cndmask_b32_e64 v15, -v18, v18, s0
	v_cndmask_b32_e64 v18, -v20, v20, s0
	ds_bpermute_b32 v20, v16, v22
	ds_bpermute_b32 v45, v16, v24
	;; [unrolled: 1-line block ×3, first 2 shown]
	v_cndmask_b32_e64 v17, -v19, v19, s0
	v_cndmask_b32_e64 v19, -v21, v21, s0
	ds_bpermute_b32 v21, v16, v23
	ds_bpermute_b32 v46, v16, v25
	v_cndmask_b32_e64 v22, -v22, v22, s0
	v_cndmask_b32_e64 v24, -v24, v24, s0
	;; [unrolled: 1-line block ×3, first 2 shown]
	s_waitcnt lgkmcnt(12)
	v_add_f32_e32 v14, v14, v33
	s_waitcnt lgkmcnt(11)
	v_add_f32_e32 v15, v15, v37
	;; [unrolled: 2-line block ×3, first 2 shown]
	ds_bpermute_b32 v33, v16, v27
	ds_bpermute_b32 v37, v16, v28
	s_waitcnt lgkmcnt(7)
	v_add_f32_e32 v18, v18, v42
	v_cndmask_b32_e64 v23, -v23, v23, s0
	v_cndmask_b32_e64 v25, -v25, v25, s0
	ds_bpermute_b32 v38, v16, v29
	ds_bpermute_b32 v42, v16, v30
	s_waitcnt lgkmcnt(8)
	v_add_f32_e32 v20, v22, v20
	s_waitcnt lgkmcnt(7)
	v_add_f32_e32 v22, v24, v45
	;; [unrolled: 2-line block ×3, first 2 shown]
	v_cndmask_b32_e64 v26, -v28, v28, s0
	v_add_f32_e32 v19, v19, v43
	ds_bpermute_b32 v43, v16, v31
	v_cndmask_b32_e64 v28, -v30, v30, s0
	ds_bpermute_b32 v30, v16, v76
	s_waitcnt lgkmcnt(7)
	v_add_f32_e32 v21, v23, v21
	ds_bpermute_b32 v45, v16, v35
	s_waitcnt lgkmcnt(7)
	v_add_f32_e32 v23, v25, v46
	v_cndmask_b32_e64 v25, -v27, v27, s0
	v_cndmask_b32_e64 v27, -v29, v29, s0
	v_cndmask_b32_e64 v29, -v31, v31, s0
	ds_bpermute_b32 v31, v16, v34
	ds_bpermute_b32 v46, v16, v36
	;; [unrolled: 1-line block ×3, first 2 shown]
	s_waitcnt lgkmcnt(9)
	v_add_f32_e32 v25, v25, v33
	s_waitcnt lgkmcnt(8)
	v_add_f32_e32 v26, v26, v37
	;; [unrolled: 2-line block ×3, first 2 shown]
	v_cndmask_b32_e64 v37, -v34, v34, s0
	v_cndmask_b32_e64 v42, -v36, v36, s0
	ds_bpermute_b32 v50, v16, v39
	ds_bpermute_b32 v51, v16, v40
	;; [unrolled: 1-line block ×3, first 2 shown]
	s_waitcnt lgkmcnt(8)
	v_add_f32_e32 v33, v29, v43
	v_cndmask_b32_e64 v29, -v76, v76, s0
	v_cndmask_b32_e64 v43, -v77, v77, s0
	ds_bpermute_b32 v54, v16, v44
	ds_bpermute_b32 v74, v16, v85
	;; [unrolled: 1-line block ×3, first 2 shown]
	s_waitcnt lgkmcnt(10)
	v_add_f32_e32 v34, v29, v30
	v_cndmask_b32_e64 v29, -v78, v78, s0
	v_cndmask_b32_e64 v30, -v79, v79, s0
	v_add_f32_e32 v27, v27, v38
	v_cndmask_b32_e64 v38, -v35, v35, s0
	ds_bpermute_b32 v78, v16, v90
	s_waitcnt lgkmcnt(9)
	v_add_f32_e32 v35, v37, v31
	v_cndmask_b32_e64 v31, -v39, v39, s0
	v_dual_add_f32 v39, v29, v48 :: v_dual_add_f32 v36, v38, v45
	ds_bpermute_b32 v45, v16, v80
	v_cndmask_b32_e64 v29, -v80, v80, s0
	s_waitcnt lgkmcnt(9)
	v_add_f32_e32 v37, v42, v46
	ds_bpermute_b32 v46, v16, v81
	s_waitcnt lgkmcnt(9)
	v_add_f32_e32 v38, v43, v47
	v_cndmask_b32_e64 v42, -v40, v40, s0
	v_cndmask_b32_e64 v43, -v41, v41, s0
	ds_bpermute_b32 v47, v16, v82
	v_add_f32_e32 v40, v30, v49
	v_cndmask_b32_e64 v30, -v81, v81, s0
	s_waitcnt lgkmcnt(8)
	v_dual_add_f32 v42, v42, v51 :: v_dual_add_f32 v43, v43, v52
	v_cndmask_b32_e64 v49, -v44, v44, s0
	ds_bpermute_b32 v51, v16, v87
	ds_bpermute_b32 v52, v16, v84
	v_cndmask_b32_e64 v48, -v83, v83, s0
	ds_bpermute_b32 v76, v16, v88
	ds_bpermute_b32 v77, v16, v89
	;; [unrolled: 1-line block ×3, first 2 shown]
	v_cndmask_b32_e64 v57, -v57, v57, s0
	s_waitcnt lgkmcnt(7)
	v_add_f32_e32 v44, v29, v45
	v_cndmask_b32_e64 v29, -v86, v86, s0
	ds_bpermute_b32 v80, v16, v62
	s_waitcnt lgkmcnt(7)
	v_add_f32_e32 v45, v30, v46
	v_cndmask_b32_e64 v30, -v87, v87, s0
	v_add_f32_e32 v41, v31, v50
	ds_bpermute_b32 v50, v16, v86
	v_cndmask_b32_e64 v31, -v82, v82, s0
	ds_bpermute_b32 v81, v16, v63
	s_mul_i32 s1, s22, s13
	s_mul_hi_u32 s9, s22, s15
	s_waitcnt lgkmcnt(8)
	v_dual_add_f32 v46, v31, v47 :: v_dual_add_f32 v47, v48, v53
	v_add_f32_e32 v48, v49, v54
	v_cndmask_b32_e64 v31, -v84, v84, s0
	v_cndmask_b32_e64 v54, -v55, v55, s0
	ds_bpermute_b32 v55, v16, v56
	v_cndmask_b32_e64 v53, -v85, v85, s0
	s_add_i32 s1, s9, s1
	s_mul_i32 s9, s23, s15
	s_delay_alu instid0(SALU_CYCLE_1)
	s_add_i32 s11, s1, s9
	s_waitcnt lgkmcnt(2)
	v_dual_add_f32 v49, v29, v50 :: v_dual_add_f32 v50, v30, v51
	v_dual_add_f32 v51, v31, v52 :: v_dual_add_f32 v52, v53, v74
	ds_bpermute_b32 v29, v16, v58
	ds_bpermute_b32 v31, v16, v61
	v_add_f32_e32 v53, v54, v75
	v_cndmask_b32_e64 v54, -v56, v56, s0
	v_cndmask_b32_e64 v56, -v88, v88, s0
	v_cndmask_b32_e64 v74, -v89, v89, s0
	v_cndmask_b32_e64 v75, -v90, v90, s0
	ds_bpermute_b32 v30, v16, v59
	s_waitcnt lgkmcnt(3)
	v_dual_add_f32 v54, v54, v55 :: v_dual_add_f32 v55, v56, v76
	v_add_f32_e32 v56, v74, v77
	v_add_f32_e32 v74, v75, v78
	ds_store_b128 v32, v[0:3]
	ds_store_b128 v32, v[4:7] offset:4096
	ds_store_b128 v32, v[8:11] offset:8192
	;; [unrolled: 1-line block ×7, first 2 shown]
	s_waitcnt lgkmcnt(0)
	s_barrier
	buffer_gl0_inv
	ds_load_b128 v[0:3], v60 offset:8192
	ds_load_b128 v[4:7], v60
	v_add_f32_e32 v75, v57, v79
	v_cndmask_b32_e64 v57, -v58, v58, s0
	v_cndmask_b32_e64 v58, -v59, v59, s0
	;; [unrolled: 1-line block ×3, first 2 shown]
	ds_load_b128 v[8:11], v60 offset:16384
	ds_load_b128 v[12:15], v60 offset:24576
	ds_bpermute_b32 v35, v16, v92
	v_add_f32_e32 v76, v57, v29
	ds_bpermute_b32 v57, v16, v91
	v_add_f32_e32 v87, v59, v31
	ds_bpermute_b32 v31, v16, v73
	ds_bpermute_b32 v36, v16, v93
	;; [unrolled: 1-line block ×3, first 2 shown]
	v_cndmask_b32_e64 v61, -v62, v62, s0
	v_cndmask_b32_e64 v62, -v63, v63, s0
	;; [unrolled: 1-line block ×3, first 2 shown]
	v_add_f32_e32 v77, v58, v30
	v_cndmask_b32_e64 v58, -v92, v92, s0
	s_delay_alu instid0(VALU_DEP_4)
	v_dual_add_f32 v88, v61, v80 :: v_dual_add_f32 v89, v62, v81
	s_waitcnt lgkmcnt(7)
	v_add_f32_e32 v80, v4, v0
	v_cndmask_b32_e64 v30, -v72, v72, s0
	v_dual_add_f32 v81, v5, v1 :: v_dual_add_f32 v84, v6, v2
	s_waitcnt lgkmcnt(5)
	v_dual_add_f32 v82, v8, v12 :: v_dual_add_f32 v83, v9, v13
	s_waitcnt lgkmcnt(2)
	v_dual_add_f32 v86, v10, v14 :: v_dual_add_f32 v33, v17, v31
	s_delay_alu instid0(VALU_DEP_2) | instskip(SKIP_3) | instid1(VALU_DEP_2)
	v_add_f32_e32 v72, v80, v82
	v_cndmask_b32_e64 v17, -v91, v91, s0
	s_waitcnt lgkmcnt(0)
	v_dual_add_f32 v90, v30, v29 :: v_dual_add_f32 v73, v81, v83
	v_add_f32_e32 v34, v17, v57
	v_cndmask_b32_e64 v57, -v93, v93, s0
	v_add_f32_e32 v35, v58, v35
	ds_load_b128 v[16:19], v60 offset:4096
	ds_load_b128 v[20:23], v60 offset:12288
	;; [unrolled: 1-line block ×4, first 2 shown]
	s_waitcnt lgkmcnt(0)
	v_add_f32_e32 v36, v57, v36
	s_barrier
	buffer_gl0_inv
	ds_store_b128 v32, v[37:40]
	ds_store_b128 v32, v[41:44] offset:4096
	ds_store_b128 v32, v[45:48] offset:8192
	;; [unrolled: 1-line block ×7, first 2 shown]
	s_waitcnt lgkmcnt(0)
	s_barrier
	buffer_gl0_inv
	ds_load_b128 v[32:35], v60 offset:8192
	ds_load_b128 v[44:47], v60
	ds_load_b128 v[36:39], v60 offset:4096
	ds_load_b128 v[40:43], v60 offset:12288
	;; [unrolled: 1-line block ×6, first 2 shown]
	v_add_f32_e32 v85, v7, v3
	v_add_f32_e32 v95, v11, v15
	s_lshl_b64 s[0:1], s[10:11], 1
	v_add_f32_e32 v74, v84, v86
	s_add_u32 s0, s18, s0
	s_addc_u32 s1, s19, s1
	v_add_f32_e32 v96, v16, v20
	v_dual_add_f32 v98, v24, v28 :: v_dual_add_f32 v97, v17, v21
	v_dual_add_f32 v100, v18, v22 :: v_dual_add_f32 v99, v25, v29
	;; [unrolled: 1-line block ×3, first 2 shown]
	v_add_f32_e32 v103, v27, v31
	v_add_f32_e32 v75, v85, v95
	s_delay_alu instid0(VALU_DEP_4)
	v_dual_add_f32 v77, v96, v98 :: v_dual_add_f32 v76, v97, v99
	s_waitcnt lgkmcnt(4)
	v_dual_add_f32 v105, v45, v33 :: v_dual_add_f32 v110, v38, v42
	s_waitcnt lgkmcnt(0)
	v_dual_add_f32 v113, v57, v53 :: v_dual_add_f32 v118, v50, v62
	v_add_f32_e32 v104, v44, v32
	v_dual_add_f32 v106, v46, v34 :: v_dual_add_f32 v107, v47, v35
	v_add_f32_e32 v112, v56, v52
	v_dual_add_f32 v108, v36, v40 :: v_dual_add_f32 v109, v37, v41
	v_dual_add_f32 v114, v58, v54 :: v_dual_add_f32 v111, v39, v43
	;; [unrolled: 1-line block ×3, first 2 shown]
	v_add_f32_e32 v92, v105, v113
	v_dual_add_f32 v117, v49, v61 :: v_dual_add_f32 v94, v110, v118
	v_add_f32_e32 v119, v51, v63
	v_dual_add_f32 v79, v100, v102 :: v_dual_add_f32 v78, v101, v103
	v_add_f32_e32 v93, v106, v114
	v_add_f32_e32 v87, v107, v115
	v_dual_add_f32 v89, v108, v116 :: v_dual_add_f32 v88, v109, v117
	v_dual_add_f32 v91, v104, v112 :: v_dual_add_f32 v90, v111, v119
	s_and_saveexec_b32 s9, s5
	s_cbranch_execz .LBB24_18
; %bb.17:
	s_delay_alu instid0(VALU_DEP_2) | instskip(SKIP_3) | instid1(VALU_DEP_4)
	v_dual_add_f32 v120, v94, v79 :: v_dual_add_f32 v121, v89, v77
	v_dual_add_f32 v126, v87, v75 :: v_dual_add_f32 v127, v93, v74
	v_dual_add_f32 v128, v91, v72 :: v_dual_add_f32 v129, v92, v73
	v_dual_add_f32 v124, v90, v78 :: v_dual_add_f32 v125, v88, v76
	v_fma_mixlo_f16 v123, s12, v120, 0
	v_fma_mixlo_f16 v122, s12, v121, 0
	;; [unrolled: 1-line block ×4, first 2 shown]
	s_delay_alu instid0(VALU_DEP_4) | instskip(NEXT) | instid1(VALU_DEP_4)
	v_fma_mixhi_f16 v123, s12, v124, 0
	v_fma_mixhi_f16 v122, s12, v125, 0
	s_delay_alu instid0(VALU_DEP_4) | instskip(NEXT) | instid1(VALU_DEP_4)
	v_fma_mixhi_f16 v121, s12, v126, 0
	v_fma_mixhi_f16 v120, s12, v129, 0
	global_store_b128 v68, v[120:123], s[0:1]
.LBB24_18:
	s_or_b32 exec_lo, exec_lo, s9
	v_dual_sub_f32 v68, v5, v1 :: v_dual_sub_f32 v121, v8, v12
	v_dual_sub_f32 v120, v4, v0 :: v_dual_sub_f32 v123, v6, v2
	;; [unrolled: 1-line block ×4, first 2 shown]
	s_delay_alu instid0(VALU_DEP_2) | instskip(NEXT) | instid1(VALU_DEP_2)
	v_dual_sub_f32 v126, v11, v15 :: v_dual_add_f32 v1, v68, v122
	v_dual_sub_f32 v129, v25, v29 :: v_dual_add_f32 v2, v123, v124
	v_dual_add_f32 v0, v120, v121 :: v_dual_sub_f32 v131, v19, v23
	v_dual_sub_f32 v128, v16, v20 :: v_dual_sub_f32 v133, v26, v30
	s_delay_alu instid0(VALU_DEP_4) | instskip(SKIP_1) | instid1(VALU_DEP_2)
	v_dual_sub_f32 v130, v24, v28 :: v_dual_add_f32 v3, v125, v126
	v_dual_sub_f32 v132, v18, v22 :: v_dual_sub_f32 v45, v45, v33
	v_dual_sub_f32 v134, v27, v31 :: v_dual_add_f32 v5, v128, v130
	v_dual_add_f32 v4, v127, v129 :: v_dual_sub_f32 v135, v44, v32
	v_dual_sub_f32 v47, v47, v35 :: v_dual_sub_f32 v136, v46, v34
	v_dual_sub_f32 v41, v37, v41 :: v_dual_sub_f32 v138, v39, v43
	;; [unrolled: 1-line block ×7, first 2 shown]
	v_dual_add_f32 v7, v132, v133 :: v_dual_add_f32 v6, v131, v134
	v_dual_add_f32 v12, v135, v42 :: v_dual_add_f32 v13, v45, v40
	s_delay_alu instid0(VALU_DEP_4)
	v_dual_add_f32 v14, v136, v52 :: v_dual_add_f32 v9, v41, v49
	v_add_f32_e32 v8, v47, v43
	v_dual_add_f32 v10, v137, v48 :: v_dual_add_f32 v15, v139, v50
	v_add_f32_e32 v11, v138, v51
	s_and_saveexec_b32 s5, vcc_lo
	s_cbranch_execz .LBB24_20
; %bb.19:
	v_dual_add_f32 v16, v12, v0 :: v_dual_add_f32 v17, v14, v2
	v_dual_add_f32 v18, v15, v7 :: v_dual_add_f32 v21, v10, v5
	v_add_f32_e32 v20, v13, v1
	v_dual_add_f32 v22, v8, v3 :: v_dual_add_f32 v23, v9, v4
	v_add_f32_e32 v24, v11, v6
	s_delay_alu instid0(VALU_DEP_4) | instskip(SKIP_3) | instid1(VALU_DEP_4)
	v_fma_mixlo_f16 v19, s12, v18, 0
	v_fma_mixlo_f16 v18, s12, v21, 0
	;; [unrolled: 1-line block ×4, first 2 shown]
	v_fma_mixhi_f16 v19, s12, v24, 0
	s_delay_alu instid0(VALU_DEP_4) | instskip(NEXT) | instid1(VALU_DEP_4)
	v_fma_mixhi_f16 v18, s12, v23, 0
	v_fma_mixhi_f16 v17, s12, v22, 0
	s_delay_alu instid0(VALU_DEP_4)
	v_fma_mixhi_f16 v16, s12, v20, 0
	global_store_b128 v64, v[16:19], s[0:1]
.LBB24_20:
	s_or_b32 exec_lo, exec_lo, s5
	v_dual_sub_f32 v20, v80, v82 :: v_dual_sub_f32 v21, v81, v83
	v_dual_sub_f32 v22, v84, v86 :: v_dual_sub_f32 v17, v97, v99
	;; [unrolled: 1-line block ×8, first 2 shown]
	s_and_saveexec_b32 s5, s2
	s_cbranch_execz .LBB24_22
; %bb.21:
	v_dual_add_f32 v32, v20, v28 :: v_dual_add_f32 v33, v22, v30
	s_delay_alu instid0(VALU_DEP_2) | instskip(SKIP_4) | instid1(VALU_DEP_4)
	v_dual_add_f32 v36, v21, v29 :: v_dual_add_f32 v37, v18, v26
	v_dual_add_f32 v34, v23, v31 :: v_dual_add_f32 v39, v17, v25
	v_add_f32_e32 v38, v16, v24
	v_add_f32_e32 v44, v19, v27
	v_fma_mixlo_f16 v33, s12, v33, 0
	v_fma_mixlo_f16 v35, s12, v34, 0
	;; [unrolled: 1-line block ×4, first 2 shown]
	s_delay_alu instid0(VALU_DEP_4) | instskip(NEXT) | instid1(VALU_DEP_4)
	v_fma_mixhi_f16 v33, s12, v38, 0
	v_fma_mixhi_f16 v35, s12, v44, 0
	s_delay_alu instid0(VALU_DEP_4) | instskip(NEXT) | instid1(VALU_DEP_4)
	v_fma_mixhi_f16 v34, s12, v39, 0
	v_fma_mixhi_f16 v32, s12, v36, 0
	global_store_b128 v65, v[32:35], s[0:1]
.LBB24_22:
	s_or_b32 exec_lo, exec_lo, s5
	v_dual_sub_f32 v36, v68, v122 :: v_dual_sub_f32 v33, v127, v129
	v_dual_sub_f32 v37, v120, v121 :: v_dual_sub_f32 v38, v125, v126
	;; [unrolled: 1-line block ×8, first 2 shown]
	s_and_saveexec_b32 s2, s3
	s_cbranch_execnz .LBB24_28
; %bb.23:
	s_or_b32 exec_lo, exec_lo, s2
	s_and_saveexec_b32 s2, s4
	s_cbranch_execnz .LBB24_29
.LBB24_24:
	s_or_b32 exec_lo, exec_lo, s2
	s_and_saveexec_b32 s2, s6
	s_cbranch_execnz .LBB24_30
.LBB24_25:
	s_or_b32 exec_lo, exec_lo, s2
	s_and_saveexec_b32 s2, s7
	s_cbranch_execnz .LBB24_31
.LBB24_26:
	s_or_b32 exec_lo, exec_lo, s2
	s_and_saveexec_b32 s2, s8
	s_cbranch_execnz .LBB24_32
.LBB24_27:
	s_nop 0
	s_sendmsg sendmsg(MSG_DEALLOC_VGPRS)
	s_endpgm
.LBB24_28:
	s_delay_alu instid0(VALU_DEP_2) | instskip(NEXT) | instid1(VALU_DEP_2)
	v_dual_add_f32 v48, v37, v45 :: v_dual_add_f32 v49, v32, v40
	v_dual_add_f32 v52, v36, v44 :: v_dual_add_f32 v53, v35, v43
	;; [unrolled: 1-line block ×3, first 2 shown]
	v_add_f32_e32 v54, v38, v46
	v_add_f32_e32 v56, v34, v42
	v_fma_mixlo_f16 v49, s12, v49, 0
	s_delay_alu instid0(VALU_DEP_4) | instskip(SKIP_2) | instid1(VALU_DEP_4)
	v_fma_mixlo_f16 v51, s12, v50, 0
	v_fma_mixlo_f16 v50, s12, v53, 0
	;; [unrolled: 1-line block ×3, first 2 shown]
	v_fma_mixhi_f16 v49, s12, v54, 0
	s_delay_alu instid0(VALU_DEP_4) | instskip(NEXT) | instid1(VALU_DEP_4)
	v_fma_mixhi_f16 v51, s12, v56, 0
	v_fma_mixhi_f16 v50, s12, v55, 0
	s_delay_alu instid0(VALU_DEP_4)
	v_fma_mixhi_f16 v48, s12, v52, 0
	global_store_b128 v66, v[48:51], s[0:1]
	s_or_b32 exec_lo, exec_lo, s2
	s_and_saveexec_b32 s2, s4
	s_cbranch_execz .LBB24_24
.LBB24_29:
	v_dual_sub_f32 v48, v72, v91 :: v_dual_sub_f32 v49, v74, v93
	v_dual_sub_f32 v50, v79, v94 :: v_dual_sub_f32 v53, v77, v89
	v_sub_f32_e32 v52, v73, v92
	v_dual_sub_f32 v54, v75, v87 :: v_dual_sub_f32 v55, v76, v88
	v_sub_f32_e32 v56, v78, v90
	s_delay_alu instid0(VALU_DEP_4) | instskip(SKIP_3) | instid1(VALU_DEP_4)
	v_fma_mixlo_f16 v51, s12, v50, 0
	v_fma_mixlo_f16 v50, s12, v53, 0
	;; [unrolled: 1-line block ×4, first 2 shown]
	v_fma_mixhi_f16 v51, s12, v56, 0
	s_delay_alu instid0(VALU_DEP_4) | instskip(NEXT) | instid1(VALU_DEP_4)
	v_fma_mixhi_f16 v50, s12, v55, 0
	v_fma_mixhi_f16 v49, s12, v54, 0
	s_delay_alu instid0(VALU_DEP_4)
	v_fma_mixhi_f16 v48, s12, v52, 0
	global_store_b128 v67, v[48:51], s[0:1]
	s_or_b32 exec_lo, exec_lo, s2
	s_and_saveexec_b32 s2, s6
	s_cbranch_execz .LBB24_25
.LBB24_30:
	v_sub_f32_e32 v0, v0, v12
	v_dual_sub_f32 v12, v1, v13 :: v_dual_sub_f32 v1, v2, v14
	v_dual_sub_f32 v2, v7, v15 :: v_dual_sub_f32 v5, v5, v10
	;; [unrolled: 1-line block ×3, first 2 shown]
	v_sub_f32_e32 v6, v6, v11
	s_delay_alu instid0(VALU_DEP_3) | instskip(NEXT) | instid1(VALU_DEP_4)
	v_fma_mixlo_f16 v3, s12, v2, 0
	v_fma_mixlo_f16 v2, s12, v5, 0
	;; [unrolled: 1-line block ×4, first 2 shown]
	s_delay_alu instid0(VALU_DEP_4) | instskip(NEXT) | instid1(VALU_DEP_4)
	v_fma_mixhi_f16 v3, s12, v6, 0
	v_fma_mixhi_f16 v2, s12, v4, 0
	s_delay_alu instid0(VALU_DEP_4) | instskip(NEXT) | instid1(VALU_DEP_4)
	v_fma_mixhi_f16 v1, s12, v7, 0
	v_fma_mixhi_f16 v0, s12, v12, 0
	global_store_b128 v69, v[0:3], s[0:1]
	s_or_b32 exec_lo, exec_lo, s2
	s_and_saveexec_b32 s2, s7
	s_cbranch_execz .LBB24_26
.LBB24_31:
	v_dual_sub_f32 v0, v20, v28 :: v_dual_sub_f32 v1, v22, v30
	v_dual_sub_f32 v4, v21, v29 :: v_dual_sub_f32 v5, v18, v26
	;; [unrolled: 1-line block ×3, first 2 shown]
	v_sub_f32_e32 v6, v16, v24
	v_sub_f32_e32 v8, v19, v27
	v_fma_mixlo_f16 v1, s12, v1, 0
	s_delay_alu instid0(VALU_DEP_4) | instskip(SKIP_2) | instid1(VALU_DEP_4)
	v_fma_mixlo_f16 v3, s12, v2, 0
	v_fma_mixlo_f16 v2, s12, v5, 0
	;; [unrolled: 1-line block ×3, first 2 shown]
	v_fma_mixhi_f16 v1, s12, v6, 0
	s_delay_alu instid0(VALU_DEP_4) | instskip(NEXT) | instid1(VALU_DEP_4)
	v_fma_mixhi_f16 v3, s12, v8, 0
	v_fma_mixhi_f16 v2, s12, v7, 0
	s_delay_alu instid0(VALU_DEP_4)
	v_fma_mixhi_f16 v0, s12, v4, 0
	global_store_b128 v70, v[0:3], s[0:1]
	s_or_b32 exec_lo, exec_lo, s2
	s_and_saveexec_b32 s2, s8
	s_cbranch_execz .LBB24_27
.LBB24_32:
	v_dual_sub_f32 v0, v37, v45 :: v_dual_sub_f32 v1, v39, v47
	v_dual_sub_f32 v2, v35, v43 :: v_dual_sub_f32 v7, v33, v41
	v_sub_f32_e32 v6, v32, v40
	v_dual_sub_f32 v4, v36, v44 :: v_dual_sub_f32 v5, v38, v46
	v_sub_f32_e32 v8, v34, v42
	v_fma_mixlo_f16 v3, s12, v1, 0
	v_fma_mixlo_f16 v2, s12, v2, 0
	;; [unrolled: 1-line block ×4, first 2 shown]
	s_delay_alu instid0(VALU_DEP_4) | instskip(NEXT) | instid1(VALU_DEP_4)
	v_fma_mixhi_f16 v3, s12, v8, 0
	v_fma_mixhi_f16 v2, s12, v7, 0
	s_delay_alu instid0(VALU_DEP_4) | instskip(NEXT) | instid1(VALU_DEP_4)
	v_fma_mixhi_f16 v1, s12, v5, 0
	v_fma_mixhi_f16 v0, s12, v4, 0
	global_store_b128 v71, v[0:3], s[0:1]
	s_nop 0
	s_sendmsg sendmsg(MSG_DEALLOC_VGPRS)
	s_endpgm
	.section	.rodata,"a",@progbits
	.p2align	6, 0x0
	.amdhsa_kernel _Z30fast_hadamard_transform_kernelI37fast_hadamard_transform_kernel_traitsILi256ELi14E6__halfEEv18HadamardParamsBase
		.amdhsa_group_segment_fixed_size 0
		.amdhsa_private_segment_fixed_size 0
		.amdhsa_kernarg_size 312
		.amdhsa_user_sgpr_count 15
		.amdhsa_user_sgpr_dispatch_ptr 0
		.amdhsa_user_sgpr_queue_ptr 0
		.amdhsa_user_sgpr_kernarg_segment_ptr 1
		.amdhsa_user_sgpr_dispatch_id 0
		.amdhsa_user_sgpr_private_segment_size 0
		.amdhsa_wavefront_size32 1
		.amdhsa_uses_dynamic_stack 0
		.amdhsa_enable_private_segment 0
		.amdhsa_system_sgpr_workgroup_id_x 1
		.amdhsa_system_sgpr_workgroup_id_y 0
		.amdhsa_system_sgpr_workgroup_id_z 0
		.amdhsa_system_sgpr_workgroup_info 0
		.amdhsa_system_vgpr_workitem_id 0
		.amdhsa_next_free_vgpr 140
		.amdhsa_next_free_sgpr 24
		.amdhsa_reserve_vcc 1
		.amdhsa_float_round_mode_32 0
		.amdhsa_float_round_mode_16_64 0
		.amdhsa_float_denorm_mode_32 3
		.amdhsa_float_denorm_mode_16_64 3
		.amdhsa_dx10_clamp 1
		.amdhsa_ieee_mode 1
		.amdhsa_fp16_overflow 0
		.amdhsa_workgroup_processor_mode 1
		.amdhsa_memory_ordered 1
		.amdhsa_forward_progress 0
		.amdhsa_shared_vgpr_count 0
		.amdhsa_exception_fp_ieee_invalid_op 0
		.amdhsa_exception_fp_denorm_src 0
		.amdhsa_exception_fp_ieee_div_zero 0
		.amdhsa_exception_fp_ieee_overflow 0
		.amdhsa_exception_fp_ieee_underflow 0
		.amdhsa_exception_fp_ieee_inexact 0
		.amdhsa_exception_int_div_zero 0
	.end_amdhsa_kernel
	.section	.text._Z30fast_hadamard_transform_kernelI37fast_hadamard_transform_kernel_traitsILi256ELi14E6__halfEEv18HadamardParamsBase,"axG",@progbits,_Z30fast_hadamard_transform_kernelI37fast_hadamard_transform_kernel_traitsILi256ELi14E6__halfEEv18HadamardParamsBase,comdat
.Lfunc_end24:
	.size	_Z30fast_hadamard_transform_kernelI37fast_hadamard_transform_kernel_traitsILi256ELi14E6__halfEEv18HadamardParamsBase, .Lfunc_end24-_Z30fast_hadamard_transform_kernelI37fast_hadamard_transform_kernel_traitsILi256ELi14E6__halfEEv18HadamardParamsBase
                                        ; -- End function
	.section	.AMDGPU.csdata,"",@progbits
; Kernel info:
; codeLenInByte = 15844
; NumSgprs: 26
; NumVgprs: 140
; ScratchSize: 0
; MemoryBound: 0
; FloatMode: 240
; IeeeMode: 1
; LDSByteSize: 0 bytes/workgroup (compile time only)
; SGPRBlocks: 3
; VGPRBlocks: 17
; NumSGPRsForWavesPerEU: 26
; NumVGPRsForWavesPerEU: 140
; Occupancy: 10
; WaveLimiterHint : 0
; COMPUTE_PGM_RSRC2:SCRATCH_EN: 0
; COMPUTE_PGM_RSRC2:USER_SGPR: 15
; COMPUTE_PGM_RSRC2:TRAP_HANDLER: 0
; COMPUTE_PGM_RSRC2:TGID_X_EN: 1
; COMPUTE_PGM_RSRC2:TGID_Y_EN: 0
; COMPUTE_PGM_RSRC2:TGID_Z_EN: 0
; COMPUTE_PGM_RSRC2:TIDIG_COMP_CNT: 0
	.section	.text._Z30fast_hadamard_transform_kernelI37fast_hadamard_transform_kernel_traitsILi256ELi15E6__halfEEv18HadamardParamsBase,"axG",@progbits,_Z30fast_hadamard_transform_kernelI37fast_hadamard_transform_kernel_traitsILi256ELi15E6__halfEEv18HadamardParamsBase,comdat
	.protected	_Z30fast_hadamard_transform_kernelI37fast_hadamard_transform_kernel_traitsILi256ELi15E6__halfEEv18HadamardParamsBase ; -- Begin function _Z30fast_hadamard_transform_kernelI37fast_hadamard_transform_kernel_traitsILi256ELi15E6__halfEEv18HadamardParamsBase
	.globl	_Z30fast_hadamard_transform_kernelI37fast_hadamard_transform_kernel_traitsILi256ELi15E6__halfEEv18HadamardParamsBase
	.p2align	8
	.type	_Z30fast_hadamard_transform_kernelI37fast_hadamard_transform_kernel_traitsILi256ELi15E6__halfEEv18HadamardParamsBase,@function
_Z30fast_hadamard_transform_kernelI37fast_hadamard_transform_kernel_traitsILi256ELi15E6__halfEEv18HadamardParamsBase: ; @_Z30fast_hadamard_transform_kernelI37fast_hadamard_transform_kernel_traitsILi256ELi15E6__halfEEv18HadamardParamsBase
; %bb.0:
	s_clause 0x3
	s_load_b128 s[24:27], s[0:1], 0x10
	s_load_b32 s29, s[0:1], 0x4
	s_load_b128 s[20:23], s[0:1], 0x28
	s_load_b32 s2, s[0:1], 0x44
	s_ashr_i32 s28, s15, 31
	v_dual_mov_b32 v12, 0 :: v_dual_lshlrev_b32 v7, 3, v0
	v_dual_mov_b32 v1, 0 :: v_dual_mov_b32 v2, 0
	v_dual_mov_b32 v3, 0 :: v_dual_mov_b32 v4, 0
	;; [unrolled: 1-line block ×4, first 2 shown]
	v_lshlrev_b32_e32 v146, 4, v0
	s_waitcnt lgkmcnt(0)
	s_mul_hi_u32 s3, s24, s15
	s_mul_i32 s4, s24, s28
	s_mul_i32 s5, s25, s15
	s_add_i32 s3, s3, s4
	s_mul_i32 s4, s24, s15
	s_add_i32 s5, s3, s5
	v_cmp_gt_u32_e64 s16, s29, v7
	s_lshl_b64 s[4:5], s[4:5], 1
	s_delay_alu instid0(SALU_CYCLE_1) | instskip(SKIP_1) | instid1(VALU_DEP_1)
	s_add_u32 s18, s20, s4
	s_addc_u32 s19, s21, s5
	s_and_saveexec_b32 s3, s16
	s_cbranch_execz .LBB25_2
; %bb.1:
	global_load_b128 v[10:13], v146, s[18:19]
	s_waitcnt vmcnt(0)
	v_cvt_f32_f16_e32 v9, v10
	v_lshrrev_b32_e32 v3, 16, v10
	v_lshrrev_b32_e32 v5, 16, v11
	;; [unrolled: 1-line block ×4, first 2 shown]
	v_cvt_f32_f16_e32 v6, v11
	v_cvt_f32_f16_e32 v4, v12
	;; [unrolled: 1-line block ×7, first 2 shown]
.LBB25_2:
	s_or_b32 exec_lo, exec_lo, s3
	s_and_b32 s20, 0xffff, s2
	v_dual_mov_b32 v11, 0 :: v_dual_mov_b32 v16, 0
	v_dual_mov_b32 v10, 0 :: v_dual_add_nc_u32 v13, s20, v0
	v_mov_b32_e32 v7, 0
	v_mov_b32_e32 v17, 0
	s_delay_alu instid0(VALU_DEP_3) | instskip(SKIP_2) | instid1(VALU_DEP_3)
	v_dual_mov_b32 v19, 0 :: v_dual_lshlrev_b32 v14, 3, v13
	v_lshlrev_b32_e32 v15, 4, v13
	v_mov_b32_e32 v21, 0
	v_cmp_gt_u32_e64 s10, s29, v14
	scratch_store_b32 off, v15, off offset:44 ; 4-byte Folded Spill
	s_and_saveexec_b32 s2, s10
	s_cbranch_execz .LBB25_4
; %bb.3:
	v_lshlrev_b32_e32 v1, 4, v13
	global_load_b128 v[20:23], v1, s[18:19]
	s_waitcnt vmcnt(0)
	v_lshrrev_b32_e32 v7, 16, v20
	v_lshrrev_b32_e32 v11, 16, v21
	;; [unrolled: 1-line block ×4, first 2 shown]
	v_cvt_f32_f16_e32 v19, v20
	v_cvt_f32_f16_e32 v16, v21
	;; [unrolled: 1-line block ×8, first 2 shown]
.LBB25_4:
	s_or_b32 exec_lo, exec_lo, s2
	v_dual_mov_b32 v13, 0 :: v_dual_add_nc_u32 v22, s20, v13
	v_mov_b32_e32 v18, 0
	v_dual_mov_b32 v14, 0 :: v_dual_mov_b32 v15, 0
	s_delay_alu instid0(VALU_DEP_3) | instskip(SKIP_3) | instid1(VALU_DEP_4)
	v_dual_mov_b32 v20, 0 :: v_dual_lshlrev_b32 v25, 3, v22
	v_dual_mov_b32 v23, 0 :: v_dual_mov_b32 v24, 0
	v_dual_mov_b32 v27, 0 :: v_dual_lshlrev_b32 v26, 4, v22
	v_mov_b32_e32 v29, 0
	v_cmp_gt_u32_e64 s7, s29, v25
	scratch_store_b32 off, v26, off offset:32 ; 4-byte Folded Spill
	s_and_saveexec_b32 s2, s7
	s_cbranch_execz .LBB25_6
; %bb.5:
	v_lshlrev_b32_e32 v14, 4, v22
	global_load_b128 v[23:26], v14, s[18:19]
	s_waitcnt vmcnt(0)
	v_lshrrev_b32_e32 v15, 16, v23
	v_lshrrev_b32_e32 v20, 16, v24
	v_cvt_f32_f16_e32 v18, v25
	v_lshrrev_b32_e32 v25, 16, v25
	v_lshrrev_b32_e32 v28, 16, v26
	v_cvt_f32_f16_e32 v27, v23
	v_cvt_f32_f16_e32 v23, v24
	;; [unrolled: 1-line block ×7, first 2 shown]
.LBB25_6:
	s_or_b32 exec_lo, exec_lo, s2
	v_dual_mov_b32 v25, 0 :: v_dual_add_nc_u32 v28, s20, v22
	v_dual_mov_b32 v22, 0 :: v_dual_mov_b32 v33, 0
	v_dual_mov_b32 v26, 0 :: v_dual_mov_b32 v35, 0
	s_delay_alu instid0(VALU_DEP_3) | instskip(SKIP_1) | instid1(VALU_DEP_2)
	v_dual_mov_b32 v37, 0 :: v_dual_lshlrev_b32 v30, 3, v28
	v_dual_mov_b32 v32, 0 :: v_dual_lshlrev_b32 v31, 4, v28
	v_cmp_gt_u32_e32 vcc_lo, s29, v30
	scratch_store_b32 off, v31, off offset:8 ; 4-byte Folded Spill
	s_and_saveexec_b32 s2, vcc_lo
	s_cbranch_execz .LBB25_8
; %bb.7:
	v_lshlrev_b32_e32 v13, 4, v28
	global_load_b128 v[36:39], v13, s[18:19]
	s_waitcnt vmcnt(0)
	v_lshrrev_b32_e32 v22, 16, v36
	v_lshrrev_b32_e32 v26, 16, v37
	v_lshrrev_b32_e32 v30, 16, v38
	v_lshrrev_b32_e32 v31, 16, v39
	v_cvt_f32_f16_e32 v35, v36
	v_cvt_f32_f16_e32 v32, v37
	v_cvt_f32_f16_e32 v25, v38
	v_cvt_f32_f16_e32 v13, v39
	v_cvt_f32_f16_e32 v37, v22
	v_cvt_f32_f16_e32 v33, v26
	v_cvt_f32_f16_e32 v26, v30
	v_cvt_f32_f16_e32 v22, v31
.LBB25_8:
	s_or_b32 exec_lo, exec_lo, s2
	v_dual_mov_b32 v31, 0 :: v_dual_add_nc_u32 v38, s20, v28
	v_mov_b32_e32 v28, 0
	v_dual_mov_b32 v30, 0 :: v_dual_mov_b32 v39, 0
	s_delay_alu instid0(VALU_DEP_3) | instskip(SKIP_3) | instid1(VALU_DEP_4)
	v_dual_mov_b32 v34, 0 :: v_dual_lshlrev_b32 v41, 3, v38
	v_dual_mov_b32 v43, 0 :: v_dual_mov_b32 v36, 0
	v_dual_mov_b32 v45, 0 :: v_dual_mov_b32 v40, 0
	v_lshlrev_b32_e32 v42, 4, v38
	v_cmp_gt_u32_e64 s2, s29, v41
	scratch_store_b32 off, v42, off offset:12 ; 4-byte Folded Spill
	s_and_saveexec_b32 s3, s2
	s_cbranch_execz .LBB25_10
; %bb.9:
	v_lshlrev_b32_e32 v30, 4, v38
	global_load_b128 v[39:42], v30, s[18:19]
	s_waitcnt vmcnt(0)
	v_lshrrev_b32_e32 v31, 16, v39
	v_lshrrev_b32_e32 v36, 16, v40
	v_cvt_f32_f16_e32 v34, v41
	v_lshrrev_b32_e32 v41, 16, v41
	v_lshrrev_b32_e32 v44, 16, v42
	v_cvt_f32_f16_e32 v43, v39
	v_cvt_f32_f16_e32 v39, v40
	v_cvt_f32_f16_e32 v30, v42
	v_cvt_f32_f16_e32 v45, v31
	v_cvt_f32_f16_e32 v40, v36
	v_cvt_f32_f16_e32 v36, v41
	v_cvt_f32_f16_e32 v31, v44
.LBB25_10:
	s_or_b32 exec_lo, exec_lo, s3
	v_dual_mov_b32 v41, 0 :: v_dual_add_nc_u32 v44, s20, v38
	v_dual_mov_b32 v38, 0 :: v_dual_mov_b32 v49, 0
	v_dual_mov_b32 v42, 0 :: v_dual_mov_b32 v51, 0
	s_delay_alu instid0(VALU_DEP_3) | instskip(SKIP_1) | instid1(VALU_DEP_2)
	v_dual_mov_b32 v53, 0 :: v_dual_lshlrev_b32 v46, 3, v44
	v_dual_mov_b32 v48, 0 :: v_dual_lshlrev_b32 v47, 4, v44
	v_cmp_gt_u32_e64 s3, s29, v46
	scratch_store_b32 off, v47, off offset:16 ; 4-byte Folded Spill
	s_and_saveexec_b32 s4, s3
	s_cbranch_execz .LBB25_12
; %bb.11:
	v_lshlrev_b32_e32 v28, 4, v44
	global_load_b128 v[52:55], v28, s[18:19]
	s_waitcnt vmcnt(0)
	v_lshrrev_b32_e32 v38, 16, v52
	v_lshrrev_b32_e32 v42, 16, v53
	v_lshrrev_b32_e32 v46, 16, v54
	v_lshrrev_b32_e32 v47, 16, v55
	v_cvt_f32_f16_e32 v51, v52
	v_cvt_f32_f16_e32 v48, v53
	v_cvt_f32_f16_e32 v41, v54
	v_cvt_f32_f16_e32 v28, v55
	v_cvt_f32_f16_e32 v53, v38
	v_cvt_f32_f16_e32 v49, v42
	v_cvt_f32_f16_e32 v42, v46
	v_cvt_f32_f16_e32 v38, v47
.LBB25_12:
	s_or_b32 exec_lo, exec_lo, s4
	v_dual_mov_b32 v47, 0 :: v_dual_add_nc_u32 v54, s20, v44
	v_mov_b32_e32 v44, 0
	v_dual_mov_b32 v46, 0 :: v_dual_mov_b32 v55, 0
	s_delay_alu instid0(VALU_DEP_3) | instskip(SKIP_3) | instid1(VALU_DEP_4)
	v_dual_mov_b32 v50, 0 :: v_dual_lshlrev_b32 v57, 3, v54
	v_dual_mov_b32 v59, 0 :: v_dual_mov_b32 v52, 0
	v_dual_mov_b32 v61, 0 :: v_dual_mov_b32 v56, 0
	v_lshlrev_b32_e32 v58, 4, v54
	v_cmp_gt_u32_e64 s4, s29, v57
	scratch_store_b32 off, v58, off offset:20 ; 4-byte Folded Spill
	s_and_saveexec_b32 s5, s4
	s_cbranch_execz .LBB25_14
; %bb.13:
	v_lshlrev_b32_e32 v46, 4, v54
	global_load_b128 v[55:58], v46, s[18:19]
	s_waitcnt vmcnt(0)
	v_lshrrev_b32_e32 v47, 16, v55
	v_lshrrev_b32_e32 v52, 16, v56
	v_cvt_f32_f16_e32 v50, v57
	v_lshrrev_b32_e32 v57, 16, v57
	v_lshrrev_b32_e32 v60, 16, v58
	v_cvt_f32_f16_e32 v59, v55
	v_cvt_f32_f16_e32 v55, v56
	v_cvt_f32_f16_e32 v46, v58
	v_cvt_f32_f16_e32 v61, v47
	v_cvt_f32_f16_e32 v56, v52
	v_cvt_f32_f16_e32 v52, v57
	v_cvt_f32_f16_e32 v47, v60
.LBB25_14:
	s_or_b32 exec_lo, exec_lo, s5
	v_dual_mov_b32 v57, 0 :: v_dual_add_nc_u32 v60, s20, v54
	v_dual_mov_b32 v54, 0 :: v_dual_mov_b32 v65, 0
	v_dual_mov_b32 v58, 0 :: v_dual_mov_b32 v67, 0
	s_delay_alu instid0(VALU_DEP_3) | instskip(SKIP_1) | instid1(VALU_DEP_2)
	v_dual_mov_b32 v69, 0 :: v_dual_lshlrev_b32 v62, 3, v60
	v_dual_mov_b32 v64, 0 :: v_dual_lshlrev_b32 v63, 4, v60
	v_cmp_gt_u32_e64 s5, s29, v62
	scratch_store_b32 off, v63, off offset:24 ; 4-byte Folded Spill
	s_and_saveexec_b32 s6, s5
	;; [unrolled: 58-line block ×3, first 2 shown]
	s_cbranch_execz .LBB25_20
; %bb.19:
	v_lshlrev_b32_e32 v60, 4, v76
	global_load_b128 v[84:87], v60, s[18:19]
	s_waitcnt vmcnt(0)
	v_lshrrev_b32_e32 v70, 16, v84
	v_lshrrev_b32_e32 v74, 16, v85
	;; [unrolled: 1-line block ×4, first 2 shown]
	v_cvt_f32_f16_e32 v83, v84
	v_cvt_f32_f16_e32 v80, v85
	;; [unrolled: 1-line block ×8, first 2 shown]
.LBB25_20:
	s_or_b32 exec_lo, exec_lo, s9
	v_dual_mov_b32 v79, 0 :: v_dual_add_nc_u32 v86, s20, v76
	v_mov_b32_e32 v76, 0
	v_dual_mov_b32 v78, 0 :: v_dual_mov_b32 v87, 0
	s_delay_alu instid0(VALU_DEP_3) | instskip(SKIP_3) | instid1(VALU_DEP_4)
	v_dual_mov_b32 v82, 0 :: v_dual_lshlrev_b32 v89, 3, v86
	v_dual_mov_b32 v91, 0 :: v_dual_mov_b32 v84, 0
	v_mov_b32_e32 v88, 0
	v_lshlrev_b32_e32 v90, 4, v86
	v_cmp_gt_u32_e64 s9, s29, v89
	v_mov_b32_e32 v92, 0
	scratch_store_b32 off, v90, off offset:40 ; 4-byte Folded Spill
	s_and_saveexec_b32 s11, s9
	s_cbranch_execz .LBB25_22
; %bb.21:
	v_lshlrev_b32_e32 v78, 4, v86
	global_load_b128 v[87:90], v78, s[18:19]
	s_waitcnt vmcnt(0)
	v_lshrrev_b32_e32 v79, 16, v87
	v_lshrrev_b32_e32 v84, 16, v88
	v_cvt_f32_f16_e32 v82, v89
	v_lshrrev_b32_e32 v89, 16, v89
	v_lshrrev_b32_e32 v93, 16, v90
	v_cvt_f32_f16_e32 v91, v87
	v_cvt_f32_f16_e32 v87, v88
	;; [unrolled: 1-line block ×7, first 2 shown]
.LBB25_22:
	s_or_b32 exec_lo, exec_lo, s11
	v_dual_mov_b32 v86, 0 :: v_dual_add_nc_u32 v93, s20, v86
	v_dual_mov_b32 v89, 0 :: v_dual_mov_b32 v90, 0
	v_dual_mov_b32 v96, 0 :: v_dual_mov_b32 v99, 0
	s_delay_alu instid0(VALU_DEP_3) | instskip(SKIP_2) | instid1(VALU_DEP_3)
	v_dual_mov_b32 v97, 0 :: v_dual_lshlrev_b32 v94, 3, v93
	v_lshlrev_b32_e32 v95, 4, v93
	v_mov_b32_e32 v101, 0
	v_cmp_gt_u32_e64 s11, s29, v94
	scratch_store_b32 off, v95, off offset:48 ; 4-byte Folded Spill
	s_and_saveexec_b32 s12, s11
	s_cbranch_execz .LBB25_24
; %bb.23:
	v_lshlrev_b32_e32 v76, 4, v93
	global_load_b128 v[100:103], v76, s[18:19]
	s_waitcnt vmcnt(0)
	v_lshrrev_b32_e32 v86, 16, v100
	v_lshrrev_b32_e32 v90, 16, v101
	;; [unrolled: 1-line block ×4, first 2 shown]
	v_cvt_f32_f16_e32 v99, v100
	v_cvt_f32_f16_e32 v96, v101
	;; [unrolled: 1-line block ×8, first 2 shown]
.LBB25_24:
	s_or_b32 exec_lo, exec_lo, s12
	v_dual_mov_b32 v94, 0 :: v_dual_add_nc_u32 v103, s20, v93
	v_dual_mov_b32 v93, 0 :: v_dual_mov_b32 v98, 0
	v_dual_mov_b32 v95, 0 :: v_dual_mov_b32 v100, 0
	s_delay_alu instid0(VALU_DEP_3) | instskip(SKIP_3) | instid1(VALU_DEP_4)
	v_dual_mov_b32 v102, 0 :: v_dual_lshlrev_b32 v105, 3, v103
	v_lshlrev_b32_e32 v106, 4, v103
	v_mov_b32_e32 v104, 0
	v_mov_b32_e32 v108, 0
	v_cmp_gt_u32_e64 s12, s29, v105
	scratch_store_b32 off, v106, off offset:52 ; 4-byte Folded Spill
	v_mov_b32_e32 v106, 0
	s_and_saveexec_b32 s13, s12
	s_cbranch_execz .LBB25_26
; %bb.25:
	v_lshlrev_b32_e32 v93, 4, v103
	global_load_b128 v[107:110], v93, s[18:19]
	s_waitcnt vmcnt(0)
	v_cvt_f32_f16_e32 v106, v107
	v_lshrrev_b32_e32 v95, 16, v107
	v_lshrrev_b32_e32 v100, 16, v108
	;; [unrolled: 1-line block ×4, first 2 shown]
	v_cvt_f32_f16_e32 v102, v108
	v_cvt_f32_f16_e32 v98, v109
	;; [unrolled: 1-line block ×7, first 2 shown]
.LBB25_26:
	s_or_b32 exec_lo, exec_lo, s13
	v_dual_mov_b32 v110, 0 :: v_dual_add_nc_u32 v111, s20, v103
	v_mov_b32_e32 v103, 0
	v_mov_b32_e32 v105, 0
	;; [unrolled: 1-line block ×3, first 2 shown]
	s_delay_alu instid0(VALU_DEP_4) | instskip(SKIP_3) | instid1(VALU_DEP_4)
	v_lshlrev_b32_e32 v109, 3, v111
	v_mov_b32_e32 v113, 0
	v_mov_b32_e32 v115, 0
	;; [unrolled: 1-line block ×3, first 2 shown]
	v_cmp_gt_u32_e64 s13, s29, v109
	s_delay_alu instid0(VALU_DEP_1)
	s_and_saveexec_b32 s17, s13
	s_cbranch_execz .LBB25_28
; %bb.27:
	v_mov_b32_e32 v114, v111
	v_mov_b32_e32 v112, 0
	s_delay_alu instid0(VALU_DEP_1) | instskip(NEXT) | instid1(VALU_DEP_1)
	v_lshlrev_b64 v[109:110], 4, v[111:112]
	v_add_co_u32 v109, s14, s18, v109
	s_delay_alu instid0(VALU_DEP_1)
	v_add_co_ci_u32_e64 v110, s14, s19, v110, s14
	global_load_b128 v[110:113], v[109:110], off
	s_waitcnt vmcnt(0)
	v_cvt_f32_f16_e32 v115, v110
	v_lshrrev_b32_e32 v103, 16, v110
	v_cvt_f32_f16_e32 v110, v111
	v_lshrrev_b32_e32 v107, 16, v111
	v_lshrrev_b32_e32 v109, 16, v112
	;; [unrolled: 1-line block ×3, first 2 shown]
	v_cvt_f32_f16_e32 v105, v112
	v_cvt_f32_f16_e32 v94, v113
	;; [unrolled: 1-line block ×6, first 2 shown]
	v_mov_b32_e32 v111, v114
.LBB25_28:
	s_or_b32 exec_lo, exec_lo, s17
	s_delay_alu instid0(VALU_DEP_1) | instskip(SKIP_2) | instid1(VALU_DEP_3)
	v_dual_mov_b32 v114, 0 :: v_dual_add_nc_u32 v125, s20, v111
	v_dual_mov_b32 v109, v111 :: v_dual_mov_b32 v112, 0
	v_dual_mov_b32 v111, 0 :: v_dual_mov_b32 v118, 0
	v_dual_mov_b32 v120, 0 :: v_dual_lshlrev_b32 v119, 3, v125
	scratch_store_b64 off, v[109:110], off offset:56 ; 8-byte Folded Spill
	v_dual_mov_b32 v109, 0 :: v_dual_mov_b32 v116, 0
	v_mov_b32_e32 v122, 0
	v_cmp_gt_u32_e64 s14, s29, v119
	v_mov_b32_e32 v124, 0
	s_delay_alu instid0(VALU_DEP_2)
	s_and_saveexec_b32 s21, s14
	s_cbranch_execz .LBB25_30
; %bb.29:
	v_mov_b32_e32 v126, 0
	s_delay_alu instid0(VALU_DEP_1) | instskip(NEXT) | instid1(VALU_DEP_1)
	v_lshlrev_b64 v[111:112], 4, v[125:126]
	v_add_co_u32 v111, s17, s18, v111
	s_delay_alu instid0(VALU_DEP_1)
	v_add_co_ci_u32_e64 v112, s17, s19, v112, s17
	global_load_b128 v[118:121], v[111:112], off
	s_waitcnt vmcnt(0)
	v_cvt_f32_f16_e32 v122, v118
	v_lshrrev_b32_e32 v112, 16, v118
	v_cvt_f32_f16_e32 v118, v119
	v_lshrrev_b32_e32 v116, 16, v119
	v_lshrrev_b32_e32 v119, 16, v120
	;; [unrolled: 1-line block ×3, first 2 shown]
	v_cvt_f32_f16_e32 v114, v120
	v_cvt_f32_f16_e32 v111, v121
	;; [unrolled: 1-line block ×6, first 2 shown]
.LBB25_30:
	s_or_b32 exec_lo, exec_lo, s21
	v_mov_b32_e32 v119, v125
	v_dual_mov_b32 v126, 0 :: v_dual_add_nc_u32 v125, s20, v125
	v_mov_b32_e32 v121, 0
	v_mov_b32_e32 v127, 0
	s_delay_alu instid0(VALU_DEP_3)
	v_dual_mov_b32 v123, v125 :: v_dual_lshlrev_b32 v128, 3, v125
	scratch_store_b64 off, v[119:120], off offset:64 ; 8-byte Folded Spill
	v_mov_b32_e32 v119, 0
	v_mov_b32_e32 v125, 0
	scratch_store_b64 off, v[123:124], off  ; 8-byte Folded Spill
	v_mov_b32_e32 v123, 0
	v_cmp_gt_u32_e64 s17, s29, v128
	v_mov_b32_e32 v128, 0
	s_delay_alu instid0(VALU_DEP_2)
	s_and_saveexec_b32 s20, s17
	s_cbranch_execz .LBB25_32
; %bb.31:
	scratch_load_b64 v[125:126], off, off   ; 8-byte Folded Reload
	s_waitcnt vmcnt(0)
	v_dual_mov_b32 v126, 0 :: v_dual_mov_b32 v109, v125
	s_delay_alu instid0(VALU_DEP_1) | instskip(SKIP_2) | instid1(VALU_DEP_1)
	v_lshlrev_b64 v[125:126], 4, v[125:126]
	scratch_store_b64 off, v[109:110], off  ; 8-byte Folded Spill
	v_add_co_u32 v125, s18, s18, v125
	v_add_co_ci_u32_e64 v126, s18, s19, v126, s18
	global_load_b128 v[128:131], v[125:126], off
	s_waitcnt vmcnt(0)
	v_lshrrev_b32_e32 v119, 16, v128
	v_cvt_f32_f16_e64 v125, v129
	v_lshrrev_b32_e32 v123, 16, v129
	v_cvt_f32_f16_e64 v121, v130
	v_lshrrev_b32_e32 v129, 16, v130
	v_lshrrev_b32_e32 v130, 16, v131
	v_cvt_f32_f16_e64 v127, v128
	v_cvt_f32_f16_e64 v109, v131
	;; [unrolled: 1-line block ×3, first 2 shown]
	v_cvt_f32_f16_e32 v126, v123
	v_cvt_f32_f16_e64 v123, v129
	v_cvt_f32_f16_e64 v119, v130
.LBB25_32:
	s_or_b32 exec_lo, exec_lo, s20
	v_add_f32_e32 v129, v9, v12
	v_dual_sub_f32 v9, v9, v12 :: v_dual_add_f32 v12, v19, v21
	v_sub_f32_e32 v19, v19, v21
	v_add_f32_e32 v21, v27, v29
	v_sub_f32_e32 v27, v27, v29
	v_add_f32_e32 v29, v35, v37
	;; [unrolled: 2-line block ×9, first 2 shown]
	v_dual_sub_f32 v91, v91, v92 :: v_dual_add_f32 v92, v101, v99
	v_sub_f32_e32 v99, v99, v101
	v_dual_add_f32 v101, v108, v106 :: v_dual_sub_f32 v106, v106, v108
	v_dual_add_f32 v108, v117, v115 :: v_dual_sub_f32 v115, v115, v117
	v_dual_add_f32 v117, v124, v122 :: v_dual_sub_f32 v122, v122, v124
	v_dual_add_f32 v124, v128, v127 :: v_dual_sub_f32 v127, v127, v128
	v_add_f32_e32 v128, v6, v8
	v_sub_f32_e32 v6, v6, v8
	v_add_f32_e32 v8, v16, v17
	v_dual_sub_f32 v16, v16, v17 :: v_dual_add_f32 v17, v23, v24
	v_dual_sub_f32 v23, v23, v24 :: v_dual_add_f32 v24, v32, v33
	;; [unrolled: 1-line block ×8, first 2 shown]
	v_sub_f32_e32 v80, v80, v81
	v_add_f32_e32 v81, v88, v87
	v_sub_f32_e32 v87, v87, v88
	v_add_f32_e32 v88, v97, v96
	v_sub_f32_e32 v96, v96, v97
	v_dual_add_f32 v97, v104, v102 :: v_dual_sub_f32 v102, v102, v104
	v_add_f32_e32 v104, v113, v110
	v_dual_sub_f32 v110, v110, v113 :: v_dual_add_f32 v113, v120, v118
	v_sub_f32_e32 v118, v118, v120
	v_dual_add_f32 v120, v126, v125 :: v_dual_sub_f32 v125, v125, v126
	v_add_f32_e32 v126, v4, v5
	v_dual_sub_f32 v4, v4, v5 :: v_dual_add_f32 v5, v10, v11
	v_sub_f32_e32 v10, v10, v11
	v_add_f32_e32 v11, v18, v20
	v_sub_f32_e32 v18, v18, v20
	v_add_f32_e32 v20, v25, v26
	v_dual_sub_f32 v25, v25, v26 :: v_dual_add_f32 v26, v34, v36
	v_sub_f32_e32 v34, v34, v36
	v_add_f32_e32 v36, v41, v42
	v_dual_sub_f32 v41, v41, v42 :: v_dual_add_f32 v42, v50, v52
	;; [unrolled: 3-line block ×5, first 2 shown]
	v_sub_f32_e32 v98, v98, v100
	v_add_f32_e32 v100, v105, v107
	v_sub_f32_e32 v105, v105, v107
	v_add_f32_e32 v107, v114, v116
	v_sub_f32_e32 v114, v114, v116
	v_dual_add_f32 v116, v123, v121 :: v_dual_sub_f32 v121, v121, v123
	v_add_f32_e32 v123, v2, v3
	v_sub_f32_e32 v2, v2, v3
	v_add_f32_e32 v3, v1, v7
	v_dual_sub_f32 v1, v1, v7 :: v_dual_sub_f32 v130, v12, v8
	v_add_f32_e32 v7, v14, v15
	v_dual_sub_f32 v14, v14, v15 :: v_dual_add_f32 v15, v13, v22
	v_dual_sub_f32 v13, v13, v22 :: v_dual_add_f32 v22, v30, v31
	;; [unrolled: 1-line block ×3, first 2 shown]
	v_sub_f32_e32 v28, v28, v38
	v_add_f32_e32 v38, v46, v47
	v_dual_sub_f32 v46, v46, v47 :: v_dual_add_f32 v47, v44, v54
	v_sub_f32_e32 v44, v44, v54
	v_add_f32_e32 v54, v62, v63
	v_dual_sub_f32 v62, v62, v63 :: v_dual_add_f32 v63, v60, v70
	;; [unrolled: 3-line block ×3, first 2 shown]
	v_sub_f32_e32 v76, v76, v86
	v_add_f32_e32 v86, v93, v95
	v_sub_f32_e32 v93, v93, v95
	v_add_f32_e32 v95, v94, v103
	v_dual_sub_f32 v94, v94, v103 :: v_dual_add_f32 v103, v111, v112
	v_dual_sub_f32 v111, v111, v112 :: v_dual_add_f32 v112, v109, v119
	v_sub_f32_e32 v109, v109, v119
	v_dual_add_f32 v119, v128, v129 :: v_dual_sub_f32 v128, v129, v128
	v_dual_add_f32 v129, v8, v12 :: v_dual_add_f32 v8, v17, v21
	v_sub_f32_e32 v21, v21, v17
	v_add_f32_e32 v12, v24, v29
	v_sub_f32_e32 v24, v29, v24
	v_add_f32_e32 v17, v33, v37
	v_sub_f32_e32 v37, v37, v33
	v_dual_add_f32 v29, v40, v45 :: v_dual_sub_f32 v40, v45, v40
	v_add_f32_e32 v33, v49, v53
	v_dual_sub_f32 v45, v53, v49 :: v_dual_sub_f32 v132, v19, v16
	v_add_f32_e32 v49, v56, v61
	v_sub_f32_e32 v53, v61, v56
	v_add_f32_e32 v56, v65, v69
	v_sub_f32_e32 v61, v69, v65
	;; [unrolled: 2-line block ×9, first 2 shown]
	v_add_f32_e32 v124, v9, v6
	v_dual_sub_f32 v131, v9, v6 :: v_dual_add_f32 v6, v19, v16
	v_add_f32_e32 v9, v27, v23
	v_sub_f32_e32 v23, v27, v23
	v_add_f32_e32 v16, v35, v32
	v_sub_f32_e32 v27, v35, v32
	;; [unrolled: 2-line block ×9, first 2 shown]
	v_add_f32_e32 v91, v99, v96
	v_dual_sub_f32 v96, v99, v96 :: v_dual_add_f32 v99, v106, v102
	v_add_f32_e32 v80, v3, v5
	v_sub_f32_e32 v102, v106, v102
	v_add_f32_e32 v106, v115, v110
	v_dual_sub_f32 v110, v115, v110 :: v_dual_sub_f32 v133, v20, v15
	v_add_f32_e32 v115, v122, v118
	v_sub_f32_e32 v118, v122, v118
	v_add_f32_e32 v122, v127, v125
	v_sub_f32_e32 v125, v127, v125
	;; [unrolled: 2-line block ×3, first 2 shown]
	v_sub_f32_e32 v126, v5, v3
	v_add_f32_e32 v3, v7, v11
	v_sub_f32_e32 v127, v11, v7
	v_add_f32_e32 v5, v15, v20
	v_add_f32_e32 v7, v22, v26
	v_dual_sub_f32 v22, v26, v22 :: v_dual_add_f32 v11, v31, v36
	v_dual_sub_f32 v26, v36, v31 :: v_dual_add_f32 v15, v38, v42
	v_sub_f32_e32 v36, v42, v38
	v_add_f32_e32 v20, v47, v52
	v_dual_sub_f32 v38, v52, v47 :: v_dual_add_f32 v31, v54, v58
	v_dual_sub_f32 v42, v58, v54 :: v_dual_add_f32 v47, v63, v68
	v_sub_f32_e32 v52, v68, v63
	v_add_f32_e32 v54, v70, v74
	v_dual_sub_f32 v58, v74, v70 :: v_dual_add_f32 v63, v79, v84
	v_sub_f32_e32 v134, v34, v30
	v_sub_f32_e32 v68, v84, v79
	v_add_f32_e32 v70, v86, v90
	v_dual_sub_f32 v90, v90, v86 :: v_dual_add_f32 v79, v95, v100
	v_sub_f32_e32 v95, v100, v95
	v_add_f32_e32 v83, v103, v107
	v_sub_f32_e32 v100, v107, v103
	v_add_f32_e32 v84, v112, v116
	;; [unrolled: 2-line block ×3, first 2 shown]
	v_dual_sub_f32 v107, v4, v2 :: v_dual_add_f32 v4, v10, v1
	v_sub_f32_e32 v112, v10, v1
	v_add_f32_e32 v1, v18, v14
	v_sub_f32_e32 v116, v18, v14
	v_add_f32_e32 v10, v25, v13
	v_dual_sub_f32 v25, v25, v13 :: v_dual_add_f32 v14, v34, v30
	v_add_f32_e32 v18, v41, v28
	v_dual_sub_f32 v41, v41, v28 :: v_dual_add_f32 v28, v50, v46
	v_sub_f32_e32 v46, v50, v46
	v_add_f32_e32 v30, v57, v44
	v_sub_f32_e32 v44, v57, v44
	v_add_f32_e32 v34, v66, v62
	v_sub_f32_e32 v50, v66, v62
	v_dual_add_f32 v62, v82, v78 :: v_dual_add_f32 v57, v73, v60
	v_sub_f32_e32 v66, v82, v78
	v_sub_f32_e32 v60, v73, v60
	v_dual_add_f32 v73, v89, v76 :: v_dual_add_f32 v140, v7, v17
	v_dual_sub_f32 v76, v89, v76 :: v_dual_add_f32 v89, v98, v93
	v_dual_sub_f32 v93, v98, v93 :: v_dual_add_f32 v98, v105, v94
	;; [unrolled: 1-line block ×5, first 2 shown]
	v_dual_add_f32 v121, v77, v119 :: v_dual_add_f32 v142, v11, v29
	v_dual_add_f32 v135, v80, v129 :: v_dual_sub_f32 v148, v49, v20
	v_dual_sub_f32 v129, v129, v80 :: v_dual_add_f32 v144, v15, v33
	v_dual_sub_f32 v137, v8, v3 :: v_dual_add_f32 v74, v47, v65
	v_dual_sub_f32 v139, v12, v5 :: v_dual_sub_f32 v78, v65, v47
	v_sub_f32_e32 v143, v29, v11
	v_dual_sub_f32 v145, v33, v15 :: v_dual_add_f32 v8, v83, v108
	v_dual_add_f32 v33, v63, v81 :: v_dual_sub_f32 v2, v117, v84
	v_sub_f32_e32 v29, v81, v63
	v_dual_add_f32 v63, v1, v9 :: v_dual_add_f32 v164, v34, v59
	v_dual_sub_f32 v65, v9, v1 :: v_dual_add_f32 v82, v62, v75
	v_mbcnt_lo_u32_b32 v1, -1, 0
	v_dual_sub_f32 v119, v119, v77 :: v_dual_add_f32 v138, v5, v12
	v_dual_add_f32 v147, v20, v49 :: v_dual_sub_f32 v12, v101, v79
	v_add_f32_e32 v13, v79, v101
	v_dual_sub_f32 v151, v19, v14 :: v_dual_add_f32 v168, v57, v67
	v_sub_f32_e32 v161, v51, v30
	v_sub_f32_e32 v79, v67, v57
	v_dual_sub_f32 v81, v75, v62 :: v_dual_add_f32 v62, v21, v127
	v_sub_f32_e32 v67, v21, v127
	v_xor_b32_e32 v21, 1, v1
	s_load_b32 s21, s[0:1], 0x20
	v_dual_sub_f32 v141, v17, v7 :: v_dual_sub_f32 v80, v72, v54
	v_dual_sub_f32 v7, v108, v83 :: v_dual_add_f32 v152, v18, v32
	s_delay_alu instid0(VALU_DEP_3) | instskip(SKIP_3) | instid1(VALU_DEP_4)
	v_cmp_gt_i32_e64 s0, 32, v21
	v_dual_add_f32 v47, v86, v124 :: v_dual_add_f32 v154, v28, v43
	v_sub_f32_e32 v153, v32, v18
	v_dual_sub_f32 v157, v43, v28 :: v_dual_add_f32 v18, v98, v106
	v_cndmask_b32_e64 v21, v1, v21, s0
	v_sub_f32_e32 v165, v59, v34
	v_dual_add_f32 v83, v73, v91 :: v_dual_sub_f32 v28, v99, v89
	v_dual_sub_f32 v34, v91, v73 :: v_dual_sub_f32 v15, v106, v98
	v_dual_add_f32 v43, v128, v123 :: v_dual_sub_f32 v98, v37, v22
	v_add_f32_e32 v91, v37, v22
	v_lshlrev_b32_e32 v37, 2, v21
	v_dual_add_f32 v149, v31, v56 :: v_dual_sub_f32 v150, v56, v31
	v_dual_add_f32 v77, v54, v72 :: v_dual_add_f32 v54, v4, v6
	v_dual_add_f32 v20, v70, v92 :: v_dual_sub_f32 v17, v92, v70
	v_dual_add_f32 v70, v10, v16 :: v_dual_sub_f32 v49, v124, v86
	v_add_f32_e32 v160, v30, v51
	v_dual_sub_f32 v72, v16, v10 :: v_dual_add_f32 v31, v89, v99
	v_dual_sub_f32 v10, v115, v105 :: v_dual_add_f32 v11, v105, v115
	v_sub_f32_e32 v106, v40, v26
	v_sub_f32_e32 v51, v128, v123
	v_dual_add_f32 v57, v130, v126 :: v_dual_sub_f32 v86, v88, v68
	v_dual_sub_f32 v59, v130, v126 :: v_dual_add_f32 v30, v104, v95
	v_dual_add_f32 v73, v24, v133 :: v_dual_add_f32 v126, v61, v42
	v_dual_sub_f32 v75, v24, v133 :: v_dual_sub_f32 v32, v97, v90
	v_dual_add_f32 v99, v40, v26 :: v_dual_add_f32 v16, v113, v100
	v_dual_sub_f32 v115, v45, v36 :: v_dual_add_f32 v24, v131, v107
	v_dual_sub_f32 v123, v53, v38 :: v_dual_sub_f32 v26, v131, v107
	v_dual_sub_f32 v127, v61, v42 :: v_dual_sub_f32 v40, v132, v112
	v_dual_add_f32 v133, v85, v58 :: v_dual_add_f32 v42, v23, v116
	v_sub_f32_e32 v85, v85, v58
	v_dual_add_f32 v9, v120, v103 :: v_dual_add_f32 v58, v35, v134
	v_sub_f32_e32 v61, v35, v134
	v_add_f32_e32 v134, v71, v60
	ds_bpermute_b32 v22, v37, v121
	v_dual_add_f32 v172, v87, v66 :: v_dual_and_b32 v21, 1, v0
	v_dual_add_f32 v3, v84, v117 :: v_dual_add_f32 v124, v14, v19
	v_sub_f32_e32 v56, v6, v4
	v_dual_add_f32 v5, v114, v122 :: v_dual_add_f32 v84, v88, v68
	v_sub_f32_e32 v4, v122, v114
	v_add_f32_e32 v114, v45, v36
	v_add_f32_e32 v122, v53, v38
	;; [unrolled: 1-line block ×3, first 2 shown]
	v_sub_f32_e32 v130, v69, v52
	v_dual_add_f32 v89, v97, v90 :: v_dual_add_f32 v68, v39, v41
	v_dual_sub_f32 v45, v23, v116 :: v_dual_add_f32 v88, v48, v46
	v_add_f32_e32 v52, v27, v25
	v_dual_sub_f32 v53, v27, v25 :: v_dual_sub_f32 v90, v48, v46
	v_sub_f32_e32 v69, v39, v41
	v_cmp_eq_u32_e64 s1, 0, v21
	ds_bpermute_b32 v25, v37, v47
	ds_bpermute_b32 v35, v37, v24
	;; [unrolled: 1-line block ×4, first 2 shown]
	v_dual_sub_f32 v6, v120, v103 :: v_dual_add_f32 v97, v55, v44
	v_dual_add_f32 v176, v102, v93 :: v_dual_sub_f32 v103, v55, v44
	v_sub_f32_e32 v102, v102, v93
	ds_bpermute_b32 v27, v37, v43
	ds_bpermute_b32 v39, v37, v119
	v_cndmask_b32_e64 v46, -v49, v49, s1
	ds_bpermute_b32 v49, v37, v135
	ds_bpermute_b32 v55, v37, v57
	v_cndmask_b32_e64 v23, -v121, v121, s1
	v_add_f32_e32 v173, v96, v76
	v_cndmask_b32_e64 v24, -v24, v24, s1
	v_cndmask_b32_e64 v26, -v26, v26, s1
	v_dual_sub_f32 v19, v104, v95 :: v_dual_sub_f32 v14, v113, v100
	s_waitcnt lgkmcnt(0)
	v_add_f32_e32 v22, v23, v22
	v_cndmask_b32_e64 v23, -v47, v47, s1
	v_add_f32_e32 v36, v132, v112
	v_dual_add_f32 v107, v64, v50 :: v_dual_sub_f32 v92, v118, v111
	v_sub_f32_e32 v132, v64, v50
	s_delay_alu instid0(VALU_DEP_4)
	v_dual_add_f32 v95, v110, v94 :: v_dual_add_f32 v100, v23, v25
	v_cndmask_b32_e64 v43, -v43, v43, s1
	v_cndmask_b32_e64 v44, -v119, v119, s1
	ds_bpermute_b32 v47, v37, v51
	ds_bpermute_b32 v50, v37, v54
	v_add_f32_e32 v25, v46, v41
	v_cndmask_b32_e64 v41, -v57, v57, s1
	v_add_f32_e32 v105, v26, v48
	ds_bpermute_b32 v48, v37, v136
	v_add_f32_e32 v23, v24, v35
	v_cndmask_b32_e64 v35, -v135, v135, s1
	v_add_f32_e32 v93, v118, v111
	v_dual_sub_f32 v21, v125, v109 :: v_dual_add_f32 v24, v44, v39
	v_cndmask_b32_e64 v39, -v54, v54, s1
	ds_bpermute_b32 v44, v37, v129
	ds_bpermute_b32 v46, v37, v56
	;; [unrolled: 1-line block ×3, first 2 shown]
	v_add_f32_e32 v26, v35, v49
	v_cndmask_b32_e64 v40, -v40, v40, s1
	v_add_f32_e32 v35, v41, v55
	v_cndmask_b32_e64 v41, -v56, v56, s1
	;; [unrolled: 2-line block ×3, first 2 shown]
	ds_bpermute_b32 v51, v37, v59
	ds_bpermute_b32 v43, v37, v36
	;; [unrolled: 1-line block ×4, first 2 shown]
	s_waitcnt lgkmcnt(9)
	v_add_f32_e32 v104, v27, v47
	v_cndmask_b32_e64 v47, -v59, v59, s1
	ds_bpermute_b32 v56, v37, v137
	v_cndmask_b32_e64 v42, -v42, v42, s1
	s_waitcnt lgkmcnt(9)
	v_add_f32_e32 v27, v39, v50
	v_cndmask_b32_e64 v39, -v129, v129, s1
	v_dual_sub_f32 v87, v87, v66 :: v_dual_add_f32 v38, v125, v109
	ds_bpermute_b32 v50, v37, v62
	s_waitcnt lgkmcnt(6)
	v_dual_add_f32 v40, v40, v54 :: v_dual_add_f32 v109, v39, v44
	ds_bpermute_b32 v54, v37, v45
	v_cndmask_b32_e64 v45, -v45, v45, s1
	v_cndmask_b32_e64 v36, -v36, v36, s1
	;; [unrolled: 1-line block ×3, first 2 shown]
	ds_bpermute_b32 v59, v37, v70
	s_waitcnt lgkmcnt(7)
	v_add_f32_e32 v39, v47, v51
	ds_bpermute_b32 v51, v37, v67
	s_waitcnt lgkmcnt(7)
	v_add_f32_e32 v108, v36, v43
	v_add_f32_e32 v36, v41, v46
	v_cndmask_b32_e64 v43, -v63, v63, s1
	v_cndmask_b32_e64 v46, -v137, v137, s1
	;; [unrolled: 1-line block ×3, first 2 shown]
	ds_bpermute_b32 v47, v37, v65
	v_dual_sub_f32 v169, v71, v60 :: v_dual_sub_f32 v94, v110, v94
	s_waitcnt lgkmcnt(7)
	v_add_f32_e32 v113, v43, v49
	s_waitcnt lgkmcnt(5)
	v_add_f32_e32 v43, v46, v56
	v_cndmask_b32_e64 v46, -v67, v67, s1
	ds_bpermute_b32 v57, v37, v138
	v_add_f32_e32 v112, v41, v48
	ds_bpermute_b32 v60, v37, v72
	ds_bpermute_b32 v64, v37, v58
	v_add_f32_e32 v42, v42, v55
	ds_bpermute_b32 v55, v37, v52
	ds_bpermute_b32 v56, v37, v139
	;; [unrolled: 1-line block ×3, first 2 shown]
	s_waitcnt lgkmcnt(7)
	v_add_f32_e32 v117, v46, v51
	v_cndmask_b32_e64 v51, -v72, v72, s1
	v_add_f32_e32 v41, v44, v50
	ds_bpermute_b32 v50, v37, v73
	v_cndmask_b32_e64 v44, -v65, v65, s1
	v_cndmask_b32_e64 v48, -v138, v138, s1
	;; [unrolled: 1-line block ×3, first 2 shown]
	v_sub_f32_e32 v96, v96, v76
	ds_bpermute_b32 v63, v37, v91
	s_waitcnt lgkmcnt(8)
	v_add_f32_e32 v116, v44, v47
	v_cndmask_b32_e64 v47, -v73, v73, s1
	v_add_f32_e32 v44, v45, v54
	v_add_f32_e32 v46, v49, v59
	v_cndmask_b32_e64 v49, -v139, v139, s1
	ds_bpermute_b32 v54, v37, v53
	ds_bpermute_b32 v59, v37, v124
	;; [unrolled: 1-line block ×9, first 2 shown]
	s_waitcnt lgkmcnt(10)
	v_add_f32_e32 v120, v47, v50
	v_cndmask_b32_e64 v50, -v53, v53, s1
	v_add_f32_e32 v45, v48, v57
	v_cndmask_b32_e64 v48, -v52, v52, s1
	v_cndmask_b32_e64 v52, -v75, v75, s1
	ds_bpermute_b32 v57, v37, v140
	v_add_f32_e32 v47, v49, v56
	ds_bpermute_b32 v56, v37, v141
	v_cndmask_b32_e64 v53, -v91, v91, s1
	v_add_f32_e32 v49, v52, v62
	ds_bpermute_b32 v62, v37, v61
	v_add_f32_e32 v121, v48, v55
	v_cndmask_b32_e64 v55, -v58, v58, s1
	ds_bpermute_b32 v58, v37, v151
	v_add_f32_e32 v48, v51, v60
	ds_bpermute_b32 v60, v37, v98
	v_cndmask_b32_e64 v51, -v140, v140, s1
	v_cndmask_b32_e64 v52, -v124, v124, s1
	s_waitcnt lgkmcnt(13)
	v_add_f32_e32 v124, v50, v54
	v_cndmask_b32_e64 v54, -v151, v151, s1
	ds_bpermute_b32 v75, v37, v122
	ds_bpermute_b32 v76, v37, v97
	s_waitcnt lgkmcnt(14)
	v_add_f32_e32 v50, v52, v59
	v_add_f32_e32 v52, v55, v64
	v_cndmask_b32_e64 v55, -v98, v98, s1
	v_cndmask_b32_e64 v59, -v142, v142, s1
	ds_bpermute_b32 v64, v37, v68
	ds_bpermute_b32 v91, v37, v149
	;; [unrolled: 1-line block ×6, first 2 shown]
	s_waitcnt lgkmcnt(0)
	s_waitcnt_vscnt null, 0x0
	v_add_f32_e32 v131, v54, v58
	v_cndmask_b32_e64 v58, -v68, v68, s1
	v_add_f32_e32 v125, v51, v57
	v_add_f32_e32 v51, v53, v63
	v_cndmask_b32_e64 v53, -v141, v141, s1
	v_cndmask_b32_e64 v57, -v61, v61, s1
	ds_bpermute_b32 v61, v37, v152
	ds_bpermute_b32 v63, v37, v99
	;; [unrolled: 1-line block ×3, first 2 shown]
	v_add_f32_e32 v129, v53, v56
	v_add_f32_e32 v53, v55, v60
	;; [unrolled: 1-line block ×3, first 2 shown]
	ds_bpermute_b32 v65, v37, v69
	v_add_f32_e32 v54, v57, v62
	v_cndmask_b32_e64 v56, -v152, v152, s1
	v_cndmask_b32_e64 v57, -v99, v99, s1
	;; [unrolled: 1-line block ×4, first 2 shown]
	ds_bpermute_b32 v62, v37, v106
	ds_bpermute_b32 v99, v37, v165
	s_waitcnt lgkmcnt(0)
	s_barrier
	buffer_gl0_inv
	v_add_f32_e32 v152, v57, v63
	v_cndmask_b32_e64 v63, -v154, v154, s1
	v_dual_add_f32 v151, v56, v61 :: v_dual_add_f32 v56, v58, v64
	v_add_f32_e32 v58, v60, v67
	v_cndmask_b32_e64 v60, -v69, v69, s1
	ds_bpermute_b32 v67, v37, v145
	v_add_f32_e32 v57, v59, v66
	ds_bpermute_b32 v66, v37, v88
	ds_bpermute_b32 v69, v37, v157
	v_add_f32_e32 v156, v60, v65
	v_add_f32_e32 v60, v63, v70
	ds_bpermute_b32 v70, v37, v147
	v_cndmask_b32_e64 v63, -v145, v145, s1
	v_cndmask_b32_e64 v65, -v115, v115, s1
	;; [unrolled: 1-line block ×5, first 2 shown]
	ds_bpermute_b32 v106, v37, v168
	ds_bpermute_b32 v115, v37, v81
	v_add_f32_e32 v155, v59, v62
	v_cndmask_b32_e64 v62, -v88, v88, s1
	ds_bpermute_b32 v88, v37, v148
	ds_bpermute_b32 v114, v37, v77
	s_waitcnt lgkmcnt(7)
	v_add_f32_e32 v159, v63, v67
	v_add_f32_e32 v63, v65, v72
	v_cndmask_b32_e64 v65, -v147, v147, s1
	v_cndmask_b32_e64 v67, -v122, v122, s1
	s_waitcnt lgkmcnt(6)
	v_add_f32_e32 v158, v62, v66
	ds_bpermute_b32 v72, v37, v161
	v_cndmask_b32_e64 v66, -v160, v160, s1
	s_waitcnt lgkmcnt(5)
	v_dual_add_f32 v162, v65, v70 :: v_dual_add_f32 v65, v67, v75
	v_cndmask_b32_e64 v70, -v103, v103, s1
	v_add_f32_e32 v59, v61, v68
	v_cndmask_b32_e64 v68, -v90, v90, s1
	v_cndmask_b32_e64 v75, -v164, v164, s1
	v_add_f32_e32 v61, v64, v71
	v_cndmask_b32_e64 v64, -v157, v157, s1
	ds_bpermute_b32 v71, v37, v160
	ds_bpermute_b32 v90, v37, v103
	;; [unrolled: 1-line block ×3, first 2 shown]
	v_add_f32_e32 v62, v64, v69
	v_add_f32_e32 v64, v68, v73
	v_cndmask_b32_e64 v68, -v97, v97, s1
	ds_bpermute_b32 v97, v37, v164
	ds_bpermute_b32 v73, v37, v123
	v_cndmask_b32_e64 v69, -v148, v148, s1
	s_waitcnt lgkmcnt(7)
	s_delay_alu instid0(VALU_DEP_1)
	v_add_f32_e32 v67, v69, v88
	v_cndmask_b32_e64 v69, -v123, v123, s1
	ds_bpermute_b32 v88, v37, v107
	s_waitcnt lgkmcnt(5)
	v_dual_add_f32 v163, v66, v71 :: v_dual_add_f32 v66, v68, v76
	v_cndmask_b32_e64 v68, -v161, v161, s1
	ds_bpermute_b32 v76, v37, v126
	v_cndmask_b32_e64 v71, -v149, v149, s1
	v_add_f32_e32 v166, v68, v72
	s_waitcnt lgkmcnt(5)
	v_add_f32_e32 v68, v70, v90
	s_waitcnt lgkmcnt(3)
	v_add_f32_e32 v70, v75, v97
	ds_bpermute_b32 v97, v37, v74
	s_waitcnt lgkmcnt(3)
	v_add_f32_e32 v167, v69, v73
	v_add_f32_e32 v69, v71, v91
	v_cndmask_b32_e64 v71, -v126, v126, s1
	v_cndmask_b32_e64 v73, -v150, v150, s1
	v_cndmask_b32_e64 v74, -v74, v74, s1
	v_cndmask_b32_e64 v90, -v127, v127, s1
	v_cndmask_b32_e64 v72, -v107, v107, s1
	v_cndmask_b32_e64 v75, -v165, v165, s1
	ds_bpermute_b32 v91, v37, v132
	ds_bpermute_b32 v107, v37, v128
	s_waitcnt lgkmcnt(3)
	v_add_f32_e32 v170, v71, v76
	v_cndmask_b32_e64 v76, -v168, v168, s1
	s_waitcnt lgkmcnt(2)
	v_add_f32_e32 v175, v74, v97
	ds_bpermute_b32 v97, v37, v82
	v_cndmask_b32_e64 v82, -v82, v82, s1
	v_add_f32_e32 v71, v73, v98
	ds_bpermute_b32 v98, v37, v78
	v_add_f32_e32 v73, v90, v103
	v_cndmask_b32_e64 v90, -v134, v134, s1
	v_add_f32_e32 v74, v76, v106
	v_cndmask_b32_e64 v78, -v78, v78, s1
	ds_bpermute_b32 v103, v37, v130
	ds_bpermute_b32 v106, v37, v133
	v_add_f32_e32 v76, v90, v110
	v_cndmask_b32_e64 v90, -v169, v169, s1
	v_dual_add_f32 v171, v72, v88 :: v_dual_add_f32 v72, v75, v99
	ds_bpermute_b32 v99, v37, v79
	v_cndmask_b32_e64 v75, -v132, v132, s1
	v_cndmask_b32_e64 v88, -v128, v128, s1
	;; [unrolled: 1-line block ×3, first 2 shown]
	ds_bpermute_b32 v110, v37, v80
	s_waitcnt lgkmcnt(7)
	v_add_f32_e32 v174, v75, v91
	s_waitcnt lgkmcnt(5)
	v_add_f32_e32 v182, v82, v97
	ds_bpermute_b32 v97, v37, v29
	s_waitcnt lgkmcnt(5)
	v_add_f32_e32 v178, v78, v98
	v_add_f32_e32 v78, v90, v111
	v_cndmask_b32_e64 v98, -v81, v81, s1
	v_cndmask_b32_e64 v29, -v29, v29, s1
	;; [unrolled: 1-line block ×4, first 2 shown]
	ds_bpermute_b32 v111, v37, v33
	v_add_f32_e32 v82, v98, v115
	ds_bpermute_b32 v98, v37, v34
	v_cndmask_b32_e64 v34, -v34, v34, s1
	v_add_f32_e32 v75, v88, v107
	ds_bpermute_b32 v107, v37, v172
	s_waitcnt lgkmcnt(5)
	v_add_f32_e32 v179, v79, v99
	ds_bpermute_b32 v99, v37, v85
	v_add_f32_e32 v79, v91, v114
	v_cndmask_b32_e64 v91, -v80, v80, s1
	v_cndmask_b32_e64 v85, -v85, v85, s1
	ds_bpermute_b32 v114, v37, v83
	v_cndmask_b32_e64 v88, -v130, v130, s1
	s_waitcnt lgkmcnt(5)
	v_add_f32_e32 v191, v29, v97
	ds_bpermute_b32 v97, v37, v32
	v_cndmask_b32_e64 v33, -v33, v33, s1
	v_cndmask_b32_e64 v29, -v31, v31, s1
	s_waitcnt lgkmcnt(3)
	v_add_f32_e32 v80, v90, v107
	v_cndmask_b32_e64 v90, -v84, v84, s1
	s_waitcnt lgkmcnt(2)
	v_add_f32_e32 v186, v85, v99
	ds_bpermute_b32 v107, v37, v96
	v_add_f32_e32 v81, v91, v110
	ds_bpermute_b32 v91, v37, v173
	;; [unrolled: 2-line block ×3, first 2 shown]
	v_cndmask_b32_e64 v20, -v20, v20, s1
	ds_bpermute_b32 v99, v37, v89
	ds_bpermute_b32 v110, v37, v17
	v_cndmask_b32_e64 v17, -v17, v17, s1
	s_waitcnt lgkmcnt(2)
	v_add_f32_e32 v194, v20, v90
	v_cndmask_b32_e64 v20, -v32, v32, s1
	ds_bpermute_b32 v32, v37, v30
	v_add_f32_e32 v77, v88, v103
	v_cndmask_b32_e64 v88, -v133, v133, s1
	ds_bpermute_b32 v103, v37, v87
	v_cndmask_b32_e64 v87, -v87, v87, s1
	v_add_f32_e32 v147, v20, v97
	ds_bpermute_b32 v97, v37, v16
	v_add_f32_e32 v183, v88, v106
	v_cndmask_b32_e64 v88, -v83, v83, s1
	ds_bpermute_b32 v106, v37, v86
	ds_bpermute_b32 v20, v37, v94
	v_add_f32_e32 v84, v88, v114
	v_cndmask_b32_e64 v88, -v96, v96, s1
	ds_bpermute_b32 v96, v37, v31
	v_cndmask_b32_e64 v31, -v89, v89, s1
	v_add_f32_e32 v88, v88, v107
	ds_bpermute_b32 v107, v37, v18
	v_cndmask_b32_e64 v18, -v18, v18, s1
	s_waitcnt lgkmcnt(8)
	v_add_f32_e32 v89, v31, v99
	s_waitcnt lgkmcnt(5)
	v_add_f32_e32 v187, v87, v103
	v_cndmask_b32_e64 v87, -v86, v86, s1
	ds_bpermute_b32 v103, v37, v176
	v_add_f32_e32 v86, v34, v98
	ds_bpermute_b32 v34, v37, v28
	ds_bpermute_b32 v98, v37, v102
	;; [unrolled: 1-line block ×3, first 2 shown]
	v_cndmask_b32_e64 v15, -v15, v15, s1
	s_waitcnt lgkmcnt(4)
	v_add_f32_e32 v31, v18, v107
	ds_bpermute_b32 v18, v37, v19
	v_add_f32_e32 v195, v29, v96
	ds_bpermute_b32 v96, v37, v12
	v_cndmask_b32_e64 v12, -v12, v12, s1
	v_add_f32_e32 v83, v33, v111
	v_cndmask_b32_e64 v33, -v173, v173, s1
	s_delay_alu instid0(VALU_DEP_1)
	v_add_f32_e32 v190, v33, v91
	v_cndmask_b32_e64 v33, -v176, v176, s1
	v_add_f32_e32 v91, v17, v110
	v_cndmask_b32_e64 v17, -v28, v28, s1
	v_cndmask_b32_e64 v28, -v102, v102, s1
	s_waitcnt lgkmcnt(5)
	v_add_f32_e32 v90, v33, v103
	ds_bpermute_b32 v33, v37, v95
	s_waitcnt lgkmcnt(5)
	v_add_f32_e32 v133, v17, v34
	v_cndmask_b32_e64 v17, -v95, v95, s1
	v_add_f32_e32 v87, v87, v106
	ds_bpermute_b32 v106, v37, v13
	v_cndmask_b32_e64 v13, -v13, v13, s1
	ds_bpermute_b32 v34, v37, v11
	s_waitcnt lgkmcnt(6)
	v_add_f32_e32 v28, v28, v98
	ds_bpermute_b32 v98, v37, v14
	v_cndmask_b32_e64 v14, -v14, v14, s1
	v_cndmask_b32_e64 v11, -v11, v11, s1
	s_waitcnt lgkmcnt(3)
	v_dual_add_f32 v202, v17, v33 :: v_dual_add_f32 v33, v15, v99
	ds_bpermute_b32 v15, v37, v93
	ds_bpermute_b32 v17, v37, v7
	s_waitcnt lgkmcnt(4)
	v_add_f32_e32 v29, v13, v106
	v_cndmask_b32_e64 v13, -v30, v30, s1
	ds_bpermute_b32 v30, v37, v8
	v_cndmask_b32_e64 v8, -v8, v8, s1
	s_waitcnt lgkmcnt(4)
	v_add_f32_e32 v34, v11, v34
	ds_bpermute_b32 v11, v37, v3
	v_add_f32_e32 v148, v13, v32
	v_add_f32_e32 v32, v12, v96
	v_cndmask_b32_e64 v12, -v19, v19, s1
	v_cndmask_b32_e64 v7, -v7, v7, s1
	ds_bpermute_b32 v99, v37, v92
	v_cndmask_b32_e64 v13, -v94, v94, s1
	ds_bpermute_b32 v19, v37, v10
	v_add_f32_e32 v206, v12, v18
	v_cndmask_b32_e64 v12, -v16, v16, s1
	v_cndmask_b32_e64 v16, -v92, v92, s1
	;; [unrolled: 1-line block ×4, first 2 shown]
	s_waitcnt lgkmcnt(3)
	v_add_f32_e32 v96, v8, v30
	v_add_f32_e32 v8, v12, v97
	v_cndmask_b32_e64 v12, -v93, v93, s1
	s_waitcnt lgkmcnt(2)
	v_dual_add_f32 v97, v3, v11 :: v_dual_add_f32 v30, v14, v98
	ds_bpermute_b32 v14, v37, v2
	ds_bpermute_b32 v11, v37, v6
	v_add_f32_e32 v92, v12, v15
	ds_bpermute_b32 v12, v37, v38
	v_add_f32_e32 v93, v7, v17
	v_xor_b32_e32 v7, 2, v1
	s_waitcnt lgkmcnt(3)
	v_add_f32_e32 v94, v10, v19
	ds_bpermute_b32 v10, v37, v9
	ds_bpermute_b32 v15, v37, v4
	v_cndmask_b32_e64 v2, -v2, v2, s1
	v_cmp_gt_i32_e64 s0, 32, v7
	s_delay_alu instid0(VALU_DEP_1)
	v_cndmask_b32_e64 v3, v1, v7, s0
	v_add_f32_e32 v95, v13, v20
	ds_bpermute_b32 v13, v37, v5
	v_cndmask_b32_e64 v5, -v5, v5, s1
	v_cndmask_b32_e64 v7, -v9, v9, s1
	;; [unrolled: 1-line block ×3, first 2 shown]
	v_lshlrev_b32_e32 v38, 2, v3
	v_cndmask_b32_e64 v3, -v4, v4, s1
	v_dual_add_f32 v209, v16, v99 :: v_dual_and_b32 v16, 2, v0
	s_waitcnt lgkmcnt(3)
	v_add_f32_e32 v98, v9, v12
	ds_bpermute_b32 v17, v38, v22
	s_waitcnt lgkmcnt(3)
	v_add_f32_e32 v4, v7, v10
	ds_bpermute_b32 v18, v38, v100
	ds_bpermute_b32 v19, v38, v101
	v_cmp_eq_u32_e64 s18, 0, v16
	s_waitcnt lgkmcnt(4)
	v_dual_add_f32 v99, v2, v14 :: v_dual_add_f32 v2, v3, v15
	v_cndmask_b32_e64 v3, -v6, v6, s1
	v_cndmask_b32_e64 v6, -v21, v21, s1
	;; [unrolled: 1-line block ×4, first 2 shown]
	s_waitcnt lgkmcnt(3)
	v_add_f32_e32 v5, v5, v13
	ds_bpermute_b32 v13, v37, v21
	ds_bpermute_b32 v12, v38, v23
	;; [unrolled: 1-line block ×5, first 2 shown]
	v_cndmask_b32_e64 v10, -v101, v101, s18
	ds_bpermute_b32 v20, v38, v105
	v_add_f32_e32 v100, v3, v11
	s_waitcnt lgkmcnt(8)
	v_add_f32_e32 v102, v7, v17
	v_cndmask_b32_e64 v3, -v23, v23, s18
	s_waitcnt lgkmcnt(7)
	v_add_f32_e32 v103, v9, v18
	ds_bpermute_b32 v17, v38, v27
	ds_bpermute_b32 v18, v38, v35
	;; [unrolled: 1-line block ×3, first 2 shown]
	v_cndmask_b32_e64 v7, -v24, v24, s18
	v_cndmask_b32_e64 v9, -v25, v25, s18
	;; [unrolled: 1-line block ×3, first 2 shown]
	ds_bpermute_b32 v22, v38, v113
	ds_bpermute_b32 v23, v38, v117
	;; [unrolled: 1-line block ×3, first 2 shown]
	s_waitcnt lgkmcnt(11)
	v_add_f32_e32 v101, v6, v13
	ds_bpermute_b32 v13, v38, v26
	s_waitcnt lgkmcnt(10)
	v_dual_add_f32 v6, v10, v19 :: v_dual_add_f32 v105, v7, v14
	v_cndmask_b32_e64 v10, -v104, v104, s18
	v_add_f32_e32 v104, v3, v12
	s_waitcnt lgkmcnt(9)
	v_add_f32_e32 v106, v9, v15
	v_cndmask_b32_e64 v3, -v26, v26, s18
	v_cndmask_b32_e64 v9, -v27, v27, s18
	s_waitcnt lgkmcnt(8)
	v_add_f32_e32 v107, v10, v16
	v_cndmask_b32_e64 v10, -v35, v35, s18
	v_cndmask_b32_e64 v12, -v109, v109, s18
	ds_bpermute_b32 v14, v38, v36
	ds_bpermute_b32 v15, v38, v39
	;; [unrolled: 1-line block ×3, first 2 shown]
	s_waitcnt lgkmcnt(10)
	v_add_f32_e32 v7, v11, v20
	v_cndmask_b32_e64 v11, -v108, v108, s18
	ds_bpermute_b32 v16, v38, v40
	ds_bpermute_b32 v20, v38, v112
	s_waitcnt lgkmcnt(10)
	v_add_f32_e32 v110, v10, v18
	v_cndmask_b32_e64 v10, -v39, v39, s18
	s_waitcnt lgkmcnt(5)
	v_add_f32_e32 v108, v3, v13
	v_cndmask_b32_e64 v3, -v36, v36, s18
	v_add_f32_e32 v109, v9, v17
	v_add_f32_e32 v9, v12, v21
	ds_bpermute_b32 v17, v38, v41
	ds_bpermute_b32 v21, v38, v116
	v_cndmask_b32_e64 v13, -v113, v113, s18
	v_cndmask_b32_e64 v12, -v112, v112, s18
	ds_bpermute_b32 v18, v38, v42
	ds_bpermute_b32 v25, v38, v125
	;; [unrolled: 1-line block ×3, first 2 shown]
	s_waitcnt lgkmcnt(8)
	v_dual_add_f32 v112, v3, v14 :: v_dual_add_f32 v113, v10, v15
	v_add_f32_e32 v10, v13, v22
	v_cndmask_b32_e64 v3, -v41, v41, s18
	v_cndmask_b32_e64 v13, -v116, v116, s18
	ds_bpermute_b32 v15, v38, v44
	s_waitcnt lgkmcnt(6)
	v_add_f32_e32 v115, v12, v20
	ds_bpermute_b32 v20, v38, v46
	v_cndmask_b32_e64 v12, -v43, v43, s18
	v_cndmask_b32_e64 v14, -v117, v117, s18
	ds_bpermute_b32 v22, v38, v120
	ds_bpermute_b32 v27, v38, v152
	;; [unrolled: 1-line block ×3, first 2 shown]
	s_waitcnt lgkmcnt(9)
	v_add_f32_e32 v116, v3, v17
	v_cndmask_b32_e64 v3, -v44, v44, s18
	s_waitcnt lgkmcnt(8)
	v_add_f32_e32 v119, v13, v21
	v_cndmask_b32_e64 v13, -v46, v46, s18
	v_add_f32_e32 v111, v11, v19
	ds_bpermute_b32 v19, v38, v43
	v_cndmask_b32_e64 v11, -v40, v40, s18
	v_cndmask_b32_e64 v17, -v121, v121, s18
	ds_bpermute_b32 v21, v38, v49
	ds_bpermute_b32 v35, v38, v156
	;; [unrolled: 1-line block ×3, first 2 shown]
	v_add_f32_e32 v114, v11, v16
	v_cndmask_b32_e64 v11, -v42, v42, s18
	ds_bpermute_b32 v16, v38, v45
	s_waitcnt lgkmcnt(8)
	v_add_f32_e32 v122, v13, v20
	v_cndmask_b32_e64 v13, -v48, v48, s18
	ds_bpermute_b32 v20, v38, v51
	v_add_f32_e32 v117, v11, v18
	v_add_f32_e32 v11, v14, v23
	ds_bpermute_b32 v18, v38, v47
	ds_bpermute_b32 v23, v38, v124
	v_cndmask_b32_e64 v14, -v120, v120, s18
	v_add_f32_e32 v120, v3, v15
	v_cndmask_b32_e64 v3, -v47, v47, s18
	v_cndmask_b32_e64 v15, -v124, v124, s18
	s_waitcnt lgkmcnt(7)
	v_add_f32_e32 v118, v12, v19
	ds_bpermute_b32 v19, v38, v48
	v_cndmask_b32_e64 v12, -v45, v45, s18
	ds_bpermute_b32 v40, v38, v167
	ds_bpermute_b32 v41, v38, v171
	;; [unrolled: 1-line block ×5, first 2 shown]
	s_waitcnt lgkmcnt(9)
	v_add_f32_e32 v121, v12, v16
	v_cndmask_b32_e64 v16, -v125, v125, s18
	v_add_f32_e32 v12, v17, v24
	ds_bpermute_b32 v17, v38, v50
	ds_bpermute_b32 v24, v38, v129
	;; [unrolled: 1-line block ×3, first 2 shown]
	s_waitcnt lgkmcnt(10)
	v_add_f32_e32 v124, v3, v18
	v_cndmask_b32_e64 v18, -v131, v131, s18
	s_waitcnt lgkmcnt(9)
	v_add_f32_e32 v127, v15, v23
	ds_bpermute_b32 v23, v38, v55
	v_cndmask_b32_e64 v3, -v50, v50, s18
	v_cndmask_b32_e64 v15, -v52, v52, s18
	ds_bpermute_b32 v46, v38, v191
	s_waitcnt lgkmcnt(10)
	v_add_f32_e32 v125, v13, v19
	v_add_f32_e32 v13, v16, v25
	v_cndmask_b32_e64 v16, -v129, v129, s18
	v_add_f32_e32 v123, v14, v22
	ds_bpermute_b32 v22, v38, v52
	v_cndmask_b32_e64 v14, -v49, v49, s18
	ds_bpermute_b32 v19, v38, v53
	ds_bpermute_b32 v25, v38, v151
	;; [unrolled: 1-line block ×4, first 2 shown]
	v_add_f32_e32 v126, v14, v21
	s_waitcnt lgkmcnt(8)
	v_add_f32_e32 v150, v16, v24
	ds_bpermute_b32 v21, v38, v54
	v_cndmask_b32_e64 v14, -v51, v51, s18
	v_add_f32_e32 v129, v3, v17
	v_cndmask_b32_e64 v17, -v151, v151, s18
	v_cndmask_b32_e64 v16, -v55, v55, s18
	ds_bpermute_b32 v24, v38, v58
	v_cndmask_b32_e64 v3, -v53, v53, s18
	ds_bpermute_b32 v48, v38, v147
	s_waitcnt lgkmcnt(7)
	v_dual_add_f32 v149, v15, v22 :: v_dual_and_b32 v50, 4, v0
	v_cndmask_b32_e64 v15, -v54, v54, s18
	v_add_f32_e32 v131, v14, v20
	v_add_f32_e32 v14, v18, v26
	ds_bpermute_b32 v26, v38, v155
	v_cndmask_b32_e64 v18, -v152, v152, s18
	ds_bpermute_b32 v22, v38, v57
	ds_bpermute_b32 v20, v38, v56
	s_waitcnt lgkmcnt(5)
	v_add_f32_e32 v152, v15, v21
	ds_bpermute_b32 v21, v38, v59
	v_add_f32_e32 v153, v16, v23
	v_add_f32_e32 v15, v18, v27
	ds_bpermute_b32 v23, v38, v60
	ds_bpermute_b32 v27, v38, v158
	v_cndmask_b32_e64 v18, -v155, v155, s18
	v_add_f32_e32 v154, v17, v25
	v_cndmask_b32_e64 v16, -v57, v57, s18
	v_cndmask_b32_e64 v17, -v58, v58, s18
	ds_bpermute_b32 v25, v38, v61
	s_waitcnt lgkmcnt(6)
	v_add_f32_e32 v157, v18, v26
	v_cndmask_b32_e64 v18, -v61, v61, s18
	v_add_f32_e32 v151, v3, v19
	v_cndmask_b32_e64 v19, -v156, v156, s18
	ds_bpermute_b32 v26, v38, v64
	v_cndmask_b32_e64 v3, -v56, v56, s18
	s_waitcnt lgkmcnt(6)
	v_dual_add_f32 v155, v16, v22 :: v_dual_add_f32 v156, v17, v24
	v_add_f32_e32 v16, v19, v35
	v_cndmask_b32_e64 v17, -v60, v60, s18
	v_cndmask_b32_e64 v19, -v158, v158, s18
	ds_bpermute_b32 v22, v38, v62
	ds_bpermute_b32 v24, v38, v63
	;; [unrolled: 1-line block ×3, first 2 shown]
	s_waitcnt lgkmcnt(4)
	v_dual_add_f32 v160, v18, v25 :: v_dual_add_f32 v161, v19, v27
	v_cndmask_b32_e64 v19, -v64, v64, s18
	ds_bpermute_b32 v27, v38, v67
	v_add_f32_e32 v57, v3, v20
	v_cndmask_b32_e64 v20, -v159, v159, s18
	v_add_f32_e32 v159, v17, v23
	ds_bpermute_b32 v23, v38, v65
	v_cndmask_b32_e64 v3, -v59, v59, s18
	v_cndmask_b32_e64 v18, -v63, v63, s18
	s_waitcnt lgkmcnt(5)
	v_add_f32_e32 v164, v19, v26
	ds_bpermute_b32 v25, v38, v66
	ds_bpermute_b32 v26, v38, v69
	v_add_f32_e32 v158, v3, v21
	v_cndmask_b32_e64 v3, -v62, v62, s18
	v_add_f32_e32 v17, v20, v36
	v_cndmask_b32_e64 v20, -v162, v162, s18
	v_cndmask_b32_e64 v21, -v163, v163, s18
	ds_bpermute_b32 v36, v38, v166
	s_waitcnt lgkmcnt(6)
	v_dual_add_f32 v162, v3, v22 :: v_dual_add_f32 v163, v18, v24
	v_cndmask_b32_e64 v3, -v65, v65, s18
	ds_bpermute_b32 v24, v38, v68
	v_add_f32_e32 v18, v21, v39
	v_cndmask_b32_e64 v21, -v166, v166, s18
	v_cndmask_b32_e64 v19, -v66, v66, s18
	;; [unrolled: 1-line block ×3, first 2 shown]
	s_waitcnt lgkmcnt(4)
	v_add_f32_e32 v166, v3, v23
	v_cndmask_b32_e64 v3, -v68, v68, s18
	v_add_f32_e32 v165, v20, v35
	v_cndmask_b32_e64 v20, -v67, v67, s18
	ds_bpermute_b32 v35, v38, v70
	v_cndmask_b32_e64 v23, -v171, v171, s18
	ds_bpermute_b32 v39, v38, v170
	s_waitcnt lgkmcnt(5)
	v_dual_add_f32 v167, v19, v25 :: v_dual_add_f32 v168, v20, v27
	v_cndmask_b32_e64 v20, -v69, v69, s18
	ds_bpermute_b32 v27, v38, v72
	ds_bpermute_b32 v25, v38, v71
	s_waitcnt lgkmcnt(6)
	v_dual_add_f32 v171, v20, v26 :: v_dual_add_f32 v20, v23, v41
	ds_bpermute_b32 v26, v38, v74
	v_add_f32_e32 v19, v22, v40
	ds_bpermute_b32 v40, v38, v174
	ds_bpermute_b32 v41, v38, v178
	v_cndmask_b32_e64 v22, -v170, v170, s18
	s_waitcnt lgkmcnt(7)
	v_add_f32_e32 v170, v3, v24
	v_cndmask_b32_e64 v3, -v71, v71, s18
	v_add_f32_e32 v169, v21, v36
	v_cndmask_b32_e64 v21, -v70, v70, s18
	ds_bpermute_b32 v36, v38, v73
	v_cndmask_b32_e64 v24, -v175, v175, s18
	v_cndmask_b32_e64 v23, -v174, v174, s18
	s_waitcnt lgkmcnt(7)
	v_add_f32_e32 v172, v21, v35
	v_cndmask_b32_e64 v21, -v72, v72, s18
	s_waitcnt lgkmcnt(4)
	v_add_f32_e32 v174, v3, v25
	ds_bpermute_b32 v35, v38, v75
	v_cndmask_b32_e64 v3, -v74, v74, s18
	v_cndmask_b32_e64 v25, -v179, v179, s18
	v_add_f32_e32 v175, v21, v27
	ds_bpermute_b32 v27, v38, v77
	v_add_f32_e32 v21, v24, v42
	v_cndmask_b32_e64 v24, -v178, v178, s18
	s_waitcnt lgkmcnt(5)
	v_add_f32_e32 v178, v3, v26
	v_cndmask_b32_e64 v26, -v183, v183, s18
	ds_bpermute_b32 v42, v38, v182
	v_cndmask_b32_e64 v3, -v77, v77, s18
	s_waitcnt lgkmcnt(4)
	v_add_f32_e32 v181, v24, v41
	v_cndmask_b32_e64 v24, -v79, v79, s18
	ds_bpermute_b32 v41, v38, v82
	v_add_f32_e32 v177, v23, v40
	ds_bpermute_b32 v40, v38, v79
	v_add_f32_e32 v173, v22, v39
	v_cndmask_b32_e64 v22, -v73, v73, s18
	ds_bpermute_b32 v39, v38, v76
	v_cndmask_b32_e64 v23, -v76, v76, s18
	s_waitcnt lgkmcnt(6)
	v_add_f32_e32 v176, v22, v36
	ds_bpermute_b32 v36, v38, v78
	v_cndmask_b32_e64 v22, -v75, v75, s18
	s_waitcnt lgkmcnt(2)
	v_add_f32_e32 v184, v24, v40
	v_cndmask_b32_e64 v24, -v81, v81, s18
	ds_bpermute_b32 v40, v38, v84
	s_waitcnt lgkmcnt(2)
	v_add_f32_e32 v180, v23, v39
	v_cndmask_b32_e64 v23, -v78, v78, s18
	ds_bpermute_b32 v39, v38, v81
	s_waitcnt lgkmcnt(2)
	v_add_f32_e32 v183, v23, v36
	ds_bpermute_b32 v36, v38, v83
	v_add_f32_e32 v179, v22, v35
	ds_bpermute_b32 v35, v38, v80
	v_add_f32_e32 v22, v25, v43
	v_cndmask_b32_e64 v25, -v182, v182, s18
	v_add_f32_e32 v182, v3, v27
	v_cndmask_b32_e64 v3, -v80, v80, s18
	v_cndmask_b32_e64 v27, -v187, v187, s18
	ds_bpermute_b32 v43, v38, v186
	v_add_f32_e32 v23, v26, v44
	v_cndmask_b32_e64 v26, -v186, v186, s18
	ds_bpermute_b32 v44, v38, v190
	s_waitcnt lgkmcnt(4)
	v_dual_add_f32 v187, v24, v39 :: v_dual_add_f32 v24, v27, v45
	ds_bpermute_b32 v45, v38, v194
	v_cndmask_b32_e64 v27, -v190, v190, s18
	ds_bpermute_b32 v39, v38, v86
	s_waitcnt lgkmcnt(4)
	v_add_f32_e32 v186, v3, v35
	v_cndmask_b32_e64 v3, -v83, v83, s18
	v_cndmask_b32_e64 v35, -v191, v191, s18
	s_delay_alu instid0(VALU_DEP_2)
	v_add_f32_e32 v190, v3, v36
	v_cndmask_b32_e64 v3, -v86, v86, s18
	v_add_f32_e32 v185, v25, v42
	v_cndmask_b32_e64 v25, -v82, v82, s18
	v_cndmask_b32_e64 v36, -v195, v195, s18
	ds_bpermute_b32 v42, v38, v85
	v_add_f32_e32 v188, v25, v41
	v_cndmask_b32_e64 v25, -v84, v84, s18
	ds_bpermute_b32 v41, v38, v87
	v_add_f32_e32 v191, v25, v40
	v_add_f32_e32 v25, v35, v46
	v_cndmask_b32_e64 v35, -v194, v194, s18
	ds_bpermute_b32 v40, v38, v89
	ds_bpermute_b32 v46, v38, v133
	s_waitcnt lgkmcnt(4)
	v_add_f32_e32 v194, v3, v39
	v_cndmask_b32_e64 v3, -v89, v89, s18
	v_add_f32_e32 v197, v35, v45
	v_cndmask_b32_e64 v35, -v91, v91, s18
	ds_bpermute_b32 v45, v38, v31
	v_add_f32_e32 v193, v27, v44
	ds_bpermute_b32 v44, v38, v91
	v_add_f32_e32 v189, v26, v43
	ds_bpermute_b32 v43, v38, v88
	v_cndmask_b32_e64 v27, -v88, v88, s18
	v_cndmask_b32_e64 v26, -v85, v85, s18
	;; [unrolled: 1-line block ×3, first 2 shown]
	s_waitcnt lgkmcnt(6)
	s_delay_alu instid0(VALU_DEP_2)
	v_add_f32_e32 v192, v26, v42
	v_cndmask_b32_e64 v26, -v87, v87, s18
	ds_bpermute_b32 v42, v38, v90
	s_waitcnt lgkmcnt(5)
	v_add_f32_e32 v198, v3, v40
	v_cndmask_b32_e64 v3, -v28, v28, s18
	ds_bpermute_b32 v40, v38, v206
	v_dual_add_f32 v195, v26, v41 :: v_dual_add_f32 v26, v36, v47
	v_cndmask_b32_e64 v36, -v133, v133, s18
	ds_bpermute_b32 v41, v38, v28
	ds_bpermute_b32 v47, v38, v148
	s_waitcnt lgkmcnt(5)
	v_add_f32_e32 v200, v35, v44
	v_cndmask_b32_e64 v28, -v29, v29, s18
	s_waitcnt lgkmcnt(4)
	v_add_f32_e32 v196, v27, v43
	ds_bpermute_b32 v43, v38, v29
	v_cndmask_b32_e64 v35, -v202, v202, s18
	v_add_f32_e32 v201, v36, v46
	ds_bpermute_b32 v36, v38, v32
	v_cndmask_b32_e64 v29, -v31, v31, s18
	v_cndmask_b32_e64 v31, -v148, v148, s18
	;; [unrolled: 1-line block ×3, first 2 shown]
	ds_bpermute_b32 v44, v38, v96
	v_cndmask_b32_e64 v46, -v96, v96, s18
	v_add_f32_e32 v204, v29, v45
	v_cndmask_b32_e64 v29, -v33, v33, s18
	ds_bpermute_b32 v45, v38, v94
	s_waitcnt lgkmcnt(5)
	v_add_f32_e32 v202, v3, v41
	s_waitcnt lgkmcnt(4)
	v_add_f32_e32 v205, v31, v47
	v_cndmask_b32_e64 v3, -v32, v32, s18
	v_cndmask_b32_e64 v31, -v206, v206, s18
	ds_bpermute_b32 v32, v38, v34
	s_waitcnt lgkmcnt(4)
	v_dual_add_f32 v203, v28, v43 :: v_dual_add_f32 v28, v35, v49
	ds_bpermute_b32 v35, v38, v8
	v_cndmask_b32_e64 v8, -v8, v8, s18
	s_waitcnt lgkmcnt(4)
	v_add_f32_e32 v206, v3, v36
	v_add_f32_e32 v208, v31, v40
	v_cndmask_b32_e64 v3, -v34, v34, s18
	ds_bpermute_b32 v31, v38, v30
	ds_bpermute_b32 v41, v38, v92
	;; [unrolled: 1-line block ×3, first 2 shown]
	v_cndmask_b32_e64 v36, -v92, v92, s18
	ds_bpermute_b32 v40, v38, v97
	ds_bpermute_b32 v47, v38, v100
	;; [unrolled: 1-line block ×3, first 2 shown]
	s_waitcnt lgkmcnt(7)
	v_add_f32_e32 v56, v3, v32
	s_waitcnt lgkmcnt(6)
	v_add_f32_e32 v34, v8, v35
	v_cndmask_b32_e64 v8, -v30, v30, s18
	v_add_f32_e32 v199, v27, v42
	v_add_f32_e32 v27, v39, v48
	ds_bpermute_b32 v39, v38, v33
	ds_bpermute_b32 v42, v38, v95
	v_cndmask_b32_e64 v33, -v95, v95, s18
	s_waitcnt lgkmcnt(6)
	v_add_f32_e32 v35, v36, v41
	v_xor_b32_e32 v41, 4, v1
	v_cndmask_b32_e64 v30, -v209, v209, s18
	v_add_f32_e32 v36, v8, v31
	s_delay_alu instid0(VALU_DEP_3) | instskip(NEXT) | instid1(VALU_DEP_1)
	v_cmp_gt_i32_e64 s0, 32, v41
	v_cndmask_b32_e64 v8, v1, v41, s0
	v_cmp_eq_u32_e64 s0, 0, v50
	v_cndmask_b32_e64 v41, -v98, v98, s18
	s_waitcnt lgkmcnt(1)
	s_delay_alu instid0(VALU_DEP_3)
	v_dual_add_f32 v207, v29, v39 :: v_dual_lshlrev_b32 v48, 2, v8
	ds_bpermute_b32 v39, v38, v209
	s_waitcnt lgkmcnt(1)
	v_add_f32_e32 v33, v33, v42
	v_cndmask_b32_e64 v42, -v93, v93, s18
	ds_bpermute_b32 v51, v48, v102
	ds_bpermute_b32 v52, v48, v103
	;; [unrolled: 1-line block ×4, first 2 shown]
	v_add_f32_e32 v32, v42, v43
	ds_bpermute_b32 v43, v38, v5
	v_cndmask_b32_e64 v5, -v5, v5, s18
	v_cndmask_b32_e64 v42, -v97, v97, s18
	ds_bpermute_b32 v50, v48, v105
	ds_bpermute_b32 v53, v48, v106
	;; [unrolled: 1-line block ×3, first 2 shown]
	v_cndmask_b32_e64 v2, -v2, v2, s18
	ds_bpermute_b32 v58, v48, v110
	ds_bpermute_b32 v59, v48, v111
	;; [unrolled: 1-line block ×5, first 2 shown]
	s_waitcnt lgkmcnt(13)
	v_add_f32_e32 v31, v30, v39
	v_add_f32_e32 v30, v42, v40
	v_cndmask_b32_e64 v42, -v99, v99, s18
	ds_bpermute_b32 v64, v48, v115
	ds_bpermute_b32 v62, v48, v113
	;; [unrolled: 1-line block ×5, first 2 shown]
	s_waitcnt lgkmcnt(13)
	v_add_f32_e32 v39, v5, v43
	v_cndmask_b32_e64 v43, -v102, v102, s0
	v_add_f32_e32 v29, v46, v44
	v_cndmask_b32_e64 v44, -v94, v94, s18
	ds_bpermute_b32 v46, v38, v99
	v_cndmask_b32_e64 v5, -v100, v100, s18
	ds_bpermute_b32 v67, v48, v118
	ds_bpermute_b32 v68, v48, v119
	v_add_f32_e32 v3, v44, v45
	ds_bpermute_b32 v44, v38, v4
	ds_bpermute_b32 v45, v38, v98
	v_cndmask_b32_e64 v4, -v4, v4, s18
	ds_bpermute_b32 v72, v48, v125
	ds_bpermute_b32 v70, v48, v122
	;; [unrolled: 1-line block ×17, first 2 shown]
	s_waitcnt lgkmcnt(17)
	v_dual_add_f32 v40, v4, v44 :: v_dual_add_f32 v41, v41, v45
	v_add_f32_e32 v4, v42, v46
	v_cndmask_b32_e64 v42, -v101, v101, s18
	ds_bpermute_b32 v45, v48, v6
	v_cndmask_b32_e64 v44, -v103, v103, s0
	ds_bpermute_b32 v46, v48, v104
	v_dual_add_f32 v147, v5, v47 :: v_dual_add_f32 v148, v42, v49
	v_add_f32_e32 v42, v43, v51
	ds_bpermute_b32 v51, v48, v7
	v_cndmask_b32_e64 v49, -v107, v107, s0
	v_add_f32_e32 v5, v44, v52
	ds_bpermute_b32 v52, v48, v108
	v_cndmask_b32_e64 v47, -v106, v106, s0
	v_add_f32_e32 v133, v2, v8
	v_cndmask_b32_e64 v2, -v6, v6, s0
	v_cndmask_b32_e64 v6, -v104, v104, s0
	;; [unrolled: 1-line block ×3, first 2 shown]
	ds_bpermute_b32 v87, v48, v156
	ds_bpermute_b32 v88, v48, v157
	;; [unrolled: 1-line block ×5, first 2 shown]
	s_waitcnt lgkmcnt(8)
	v_add_f32_e32 v43, v2, v45
	v_cndmask_b32_e64 v2, -v7, v7, s0
	s_waitcnt lgkmcnt(7)
	v_add_f32_e32 v44, v6, v46
	v_add_f32_e32 v46, v47, v53
	;; [unrolled: 1-line block ×3, first 2 shown]
	v_cndmask_b32_e64 v7, -v108, v108, s0
	v_cndmask_b32_e64 v53, -v110, v110, s0
	;; [unrolled: 1-line block ×3, first 2 shown]
	s_waitcnt lgkmcnt(6)
	v_add_f32_e32 v47, v2, v51
	v_cndmask_b32_e64 v2, -v9, v9, s0
	v_add_f32_e32 v45, v8, v50
	v_cndmask_b32_e64 v8, -v109, v109, s0
	s_waitcnt lgkmcnt(5)
	v_add_f32_e32 v49, v7, v52
	v_add_f32_e32 v51, v53, v58
	;; [unrolled: 1-line block ×3, first 2 shown]
	v_cndmask_b32_e64 v58, -v115, v115, s0
	v_add_f32_e32 v50, v8, v55
	v_cndmask_b32_e64 v8, -v112, v112, s0
	v_cndmask_b32_e64 v55, -v114, v114, s0
	ds_bpermute_b32 v59, v48, v10
	v_add_f32_e32 v52, v2, v60
	v_cndmask_b32_e64 v2, -v10, v10, s0
	v_cndmask_b32_e64 v10, -v117, v117, s0
	v_add_f32_e32 v53, v8, v61
	v_dual_add_f32 v55, v55, v63 :: v_dual_add_f32 v8, v58, v64
	ds_bpermute_b32 v63, v48, v11
	ds_bpermute_b32 v64, v48, v120
	v_cndmask_b32_e64 v9, -v113, v113, s0
	v_cndmask_b32_e64 v61, -v118, v118, s0
	v_add_f32_e32 v60, v10, v66
	v_cndmask_b32_e64 v10, -v120, v120, s0
	v_cndmask_b32_e64 v66, -v123, v123, s0
	v_add_f32_e32 v54, v9, v62
	;; [unrolled: 3-line block ×3, first 2 shown]
	ds_bpermute_b32 v67, v48, v12
	ds_bpermute_b32 v91, v48, v160
	s_waitcnt lgkmcnt(4)
	v_add_f32_e32 v58, v2, v59
	v_cndmask_b32_e64 v2, -v11, v11, s0
	v_add_f32_e32 v59, v9, v65
	v_add_f32_e32 v9, v62, v68
	v_cndmask_b32_e64 v65, -v122, v122, s0
	ds_bpermute_b32 v68, v48, v124
	v_cndmask_b32_e64 v11, -v121, v121, s0
	s_waitcnt lgkmcnt(4)
	v_add_f32_e32 v62, v2, v63
	s_waitcnt lgkmcnt(3)
	v_add_f32_e32 v63, v10, v64
	v_dual_add_f32 v65, v65, v70 :: v_dual_add_f32 v10, v66, v71
	ds_bpermute_b32 v71, v48, v13
	v_add_f32_e32 v64, v11, v69
	v_cndmask_b32_e64 v2, -v12, v12, s0
	v_cndmask_b32_e64 v11, -v124, v124, s0
	;; [unrolled: 1-line block ×5, first 2 shown]
	s_waitcnt lgkmcnt(3)
	v_add_f32_e32 v66, v2, v67
	v_cndmask_b32_e64 v2, -v13, v13, s0
	v_cndmask_b32_e64 v13, -v131, v131, s0
	v_add_f32_e32 v69, v69, v73
	v_cndmask_b32_e64 v73, -v149, v149, s0
	ds_bpermute_b32 v92, v48, v161
	ds_bpermute_b32 v100, v48, v171
	s_waitcnt lgkmcnt(3)
	v_add_f32_e32 v67, v11, v68
	v_dual_add_f32 v68, v12, v72 :: v_dual_add_f32 v11, v70, v74
	v_cndmask_b32_e64 v12, -v129, v129, s0
	v_cndmask_b32_e64 v74, -v150, v150, s0
	v_add_f32_e32 v72, v13, v76
	s_waitcnt lgkmcnt(2)
	v_add_f32_e32 v70, v2, v71
	v_cndmask_b32_e64 v2, -v14, v14, s0
	v_add_f32_e32 v73, v73, v77
	v_cndmask_b32_e64 v13, -v151, v151, s0
	v_cndmask_b32_e64 v14, -v152, v152, s0
	v_dual_add_f32 v71, v12, v75 :: v_dual_add_f32 v12, v74, v78
	v_cndmask_b32_e64 v77, -v153, v153, s0
	v_cndmask_b32_e64 v78, -v154, v154, s0
	s_delay_alu instid0(VALU_DEP_4)
	v_add_f32_e32 v76, v14, v81
	v_dual_add_f32 v74, v2, v79 :: v_dual_add_f32 v75, v13, v80
	v_cndmask_b32_e64 v2, -v15, v15, s0
	v_add_f32_e32 v77, v77, v82
	v_add_f32_e32 v13, v78, v83
	v_cndmask_b32_e64 v14, -v57, v57, s0
	v_cndmask_b32_e64 v57, -v156, v156, s0
	;; [unrolled: 1-line block ×3, first 2 shown]
	ds_bpermute_b32 v83, v48, v16
	ds_bpermute_b32 v95, v48, v165
	;; [unrolled: 1-line block ×3, first 2 shown]
	v_add_f32_e32 v79, v14, v85
	v_dual_add_f32 v81, v57, v87 :: v_dual_add_f32 v14, v82, v88
	ds_bpermute_b32 v87, v48, v17
	ds_bpermute_b32 v88, v48, v162
	v_cndmask_b32_e64 v15, -v155, v155, s0
	v_add_f32_e32 v78, v2, v84
	v_cndmask_b32_e64 v2, -v16, v16, s0
	v_cndmask_b32_e64 v16, -v159, v159, s0
	;; [unrolled: 1-line block ×3, first 2 shown]
	v_add_f32_e32 v80, v15, v86
	v_cndmask_b32_e64 v15, -v158, v158, s0
	v_cndmask_b32_e64 v86, -v161, v161, s0
	ds_bpermute_b32 v94, v48, v164
	v_add_f32_e32 v84, v16, v90
	v_cndmask_b32_e64 v16, -v162, v162, s0
	v_cndmask_b32_e64 v90, -v165, v165, s0
	s_waitcnt lgkmcnt(5)
	v_add_f32_e32 v82, v2, v83
	v_cndmask_b32_e64 v2, -v17, v17, s0
	v_add_f32_e32 v83, v15, v89
	ds_bpermute_b32 v96, v48, v167
	v_add_f32_e32 v85, v57, v91
	ds_bpermute_b32 v91, v48, v18
	ds_bpermute_b32 v97, v48, v168
	;; [unrolled: 1-line block ×4, first 2 shown]
	v_add_f32_e32 v15, v86, v92
	ds_bpermute_b32 v92, v48, v166
	s_waitcnt lgkmcnt(7)
	v_dual_add_f32 v86, v2, v87 :: v_dual_add_f32 v87, v16, v88
	v_add_f32_e32 v16, v90, v95
	ds_bpermute_b32 v95, v48, v19
	ds_bpermute_b32 v99, v48, v170
	;; [unrolled: 1-line block ×4, first 2 shown]
	v_cndmask_b32_e64 v17, -v163, v163, s0
	v_cndmask_b32_e64 v57, -v164, v164, s0
	ds_bpermute_b32 v103, v48, v20
	ds_bpermute_b32 v104, v48, v174
	;; [unrolled: 1-line block ×4, first 2 shown]
	v_add_f32_e32 v88, v17, v93
	v_cndmask_b32_e64 v2, -v18, v18, s0
	s_waitcnt lgkmcnt(14)
	v_add_f32_e32 v89, v57, v94
	v_cndmask_b32_e64 v17, -v166, v166, s0
	v_cndmask_b32_e64 v18, -v167, v167, s0
	v_cndmask_b32_e64 v57, -v168, v168, s0
	s_waitcnt lgkmcnt(12)
	v_add_f32_e32 v90, v2, v91
	v_cndmask_b32_e64 v94, -v169, v169, s0
	ds_bpermute_b32 v108, v48, v21
	ds_bpermute_b32 v109, v48, v178
	;; [unrolled: 1-line block ×4, first 2 shown]
	v_cndmask_b32_e64 v2, -v19, v19, s0
	s_waitcnt lgkmcnt(12)
	v_add_f32_e32 v91, v17, v92
	v_add_f32_e32 v92, v18, v96
	v_cndmask_b32_e64 v18, -v170, v170, s0
	v_cndmask_b32_e64 v19, -v171, v171, s0
	ds_bpermute_b32 v117, v48, v187
	v_add_f32_e32 v17, v94, v98
	v_cndmask_b32_e64 v98, -v173, v173, s0
	v_add_f32_e32 v93, v57, v97
	v_cndmask_b32_e64 v57, -v172, v172, s0
	s_waitcnt lgkmcnt(12)
	v_add_f32_e32 v94, v2, v95
	v_add_f32_e32 v96, v19, v100
	v_cndmask_b32_e64 v2, -v20, v20, s0
	v_cndmask_b32_e64 v19, -v174, v174, s0
	s_waitcnt lgkmcnt(10)
	v_add_f32_e32 v97, v57, v101
	v_cndmask_b32_e64 v20, -v175, v175, s0
	v_cndmask_b32_e64 v57, -v176, v176, s0
	ds_bpermute_b32 v120, v48, v191
	v_add_f32_e32 v95, v18, v99
	s_waitcnt lgkmcnt(10)
	v_add_f32_e32 v18, v98, v102
	v_cndmask_b32_e64 v102, -v177, v177, s0
	s_waitcnt lgkmcnt(8)
	v_dual_add_f32 v98, v2, v103 :: v_dual_add_f32 v99, v19, v104
	v_add_f32_e32 v100, v20, v105
	v_cndmask_b32_e64 v2, -v21, v21, s0
	s_waitcnt lgkmcnt(7)
	v_add_f32_e32 v101, v57, v106
	v_cndmask_b32_e64 v20, -v178, v178, s0
	v_cndmask_b32_e64 v57, -v180, v180, s0
	;; [unrolled: 1-line block ×3, first 2 shown]
	ds_bpermute_b32 v114, v48, v183
	ds_bpermute_b32 v115, v48, v184
	;; [unrolled: 1-line block ×3, first 2 shown]
	s_waitcnt lgkmcnt(9)
	v_add_f32_e32 v19, v102, v107
	ds_bpermute_b32 v107, v48, v22
	ds_bpermute_b32 v113, v48, v182
	;; [unrolled: 1-line block ×3, first 2 shown]
	s_waitcnt lgkmcnt(10)
	v_dual_add_f32 v102, v2, v108 :: v_dual_add_f32 v103, v20, v109
	s_waitcnt lgkmcnt(8)
	v_add_f32_e32 v20, v106, v112
	v_cndmask_b32_e64 v2, -v22, v22, s0
	v_cndmask_b32_e64 v22, -v183, v183, s0
	v_add_f32_e32 v105, v57, v111
	ds_bpermute_b32 v111, v48, v23
	ds_bpermute_b32 v112, v48, v186
	;; [unrolled: 1-line block ×4, first 2 shown]
	v_cndmask_b32_e64 v21, -v179, v179, s0
	v_cndmask_b32_e64 v57, -v184, v184, s0
	ds_bpermute_b32 v126, v48, v197
	s_waitcnt lgkmcnt(10)
	v_add_f32_e32 v108, v22, v114
	v_cndmask_b32_e64 v22, -v186, v186, s0
	v_add_f32_e32 v104, v21, v110
	v_cndmask_b32_e64 v21, -v182, v182, s0
	v_cndmask_b32_e64 v110, -v185, v185, s0
	s_waitcnt lgkmcnt(7)
	v_add_f32_e32 v106, v2, v107
	v_add_f32_e32 v109, v57, v115
	v_cndmask_b32_e64 v2, -v23, v23, s0
	v_cndmask_b32_e64 v57, -v188, v188, s0
	;; [unrolled: 1-line block ×3, first 2 shown]
	ds_bpermute_b32 v115, v48, v24
	s_waitcnt lgkmcnt(7)
	v_add_f32_e32 v107, v21, v113
	ds_bpermute_b32 v121, v48, v192
	ds_bpermute_b32 v122, v48, v193
	;; [unrolled: 1-line block ×3, first 2 shown]
	s_waitcnt lgkmcnt(9)
	v_add_f32_e32 v21, v110, v116
	ds_bpermute_b32 v116, v48, v190
	s_waitcnt lgkmcnt(7)
	v_dual_add_f32 v110, v2, v111 :: v_dual_add_f32 v113, v57, v118
	ds_bpermute_b32 v138, v48, v206
	v_add_f32_e32 v111, v22, v112
	s_waitcnt lgkmcnt(7)
	v_add_f32_e32 v22, v114, v119
	ds_bpermute_b32 v119, v48, v25
	ds_bpermute_b32 v123, v48, v194
	;; [unrolled: 1-line block ×4, first 2 shown]
	v_cndmask_b32_e64 v23, -v187, v187, s0
	v_cndmask_b32_e64 v2, -v24, v24, s0
	ds_bpermute_b32 v129, v48, v199
	ds_bpermute_b32 v135, v48, v203
	v_cndmask_b32_e64 v24, -v191, v191, s0
	v_add_f32_e32 v112, v23, v117
	v_cndmask_b32_e64 v23, -v190, v190, s0
	v_cndmask_b32_e64 v57, -v192, v192, s0
	;; [unrolled: 1-line block ×3, first 2 shown]
	s_waitcnt lgkmcnt(11)
	v_add_f32_e32 v114, v2, v115
	v_cndmask_b32_e64 v2, -v25, v25, s0
	s_waitcnt lgkmcnt(7)
	v_add_f32_e32 v115, v23, v116
	ds_bpermute_b32 v128, v48, v198
	ds_bpermute_b32 v130, v48, v200
	;; [unrolled: 1-line block ×3, first 2 shown]
	v_dual_add_f32 v116, v24, v120 :: v_dual_add_f32 v117, v57, v121
	v_cndmask_b32_e64 v24, -v194, v194, s0
	v_cndmask_b32_e64 v57, -v196, v196, s0
	ds_bpermute_b32 v131, v48, v201
	ds_bpermute_b32 v134, v48, v202
	;; [unrolled: 1-line block ×4, first 2 shown]
	v_add_f32_e32 v23, v118, v122
	v_cndmask_b32_e64 v122, -v197, v197, s0
	s_waitcnt lgkmcnt(12)
	v_add_f32_e32 v118, v2, v119
	v_cndmask_b32_e64 v2, -v26, v26, s0
	v_cndmask_b32_e64 v25, -v195, v195, s0
	s_waitcnt lgkmcnt(10)
	v_add_f32_e32 v121, v57, v125
	v_cndmask_b32_e64 v26, -v199, v199, s0
	v_dual_add_f32 v119, v24, v123 :: v_dual_add_f32 v24, v122, v126
	ds_bpermute_b32 v132, v48, v27
	s_waitcnt lgkmcnt(10)
	v_add_f32_e32 v122, v2, v127
	v_cndmask_b32_e64 v2, -v27, v27, s0
	v_cndmask_b32_e64 v27, -v203, v203, s0
	v_add_f32_e32 v120, v25, v124
	s_waitcnt lgkmcnt(9)
	v_add_f32_e32 v124, v26, v129
	v_cndmask_b32_e64 v25, -v198, v198, s0
	v_cndmask_b32_e64 v57, -v200, v200, s0
	s_waitcnt lgkmcnt(8)
	v_add_f32_e32 v129, v27, v135
	v_cndmask_b32_e64 v27, -v206, v206, s0
	v_cndmask_b32_e64 v33, -v33, v33, s0
	;; [unrolled: 1-line block ×3, first 2 shown]
	s_waitcnt lgkmcnt(6)
	v_add_f32_e32 v125, v57, v130
	v_cndmask_b32_e64 v26, -v202, v202, s0
	v_cndmask_b32_e64 v57, -v204, v204, s0
	ds_bpermute_b32 v130, v48, v28
	s_waitcnt lgkmcnt(6)
	v_dual_add_f32 v150, v27, v138 :: v_dual_add_f32 v27, v33, v141
	ds_bpermute_b32 v33, v48, v3
	v_cndmask_b32_e64 v3, -v3, v3, s0
	v_add_f32_e32 v123, v25, v128
	v_cndmask_b32_e64 v128, -v205, v205, s0
	ds_bpermute_b32 v139, v48, v207
	s_waitcnt lgkmcnt(6)
	v_add_f32_e32 v127, v26, v134
	ds_bpermute_b32 v134, v48, v34
	v_dual_add_f32 v25, v126, v131 :: v_dual_add_f32 v26, v128, v137
	ds_bpermute_b32 v128, v48, v29
	ds_bpermute_b32 v137, v48, v31
	v_cndmask_b32_e64 v31, -v31, v31, s0
	s_waitcnt lgkmcnt(8)
	v_add_f32_e32 v131, v57, v136
	ds_bpermute_b32 v136, v48, v32
	s_waitcnt lgkmcnt(7)
	v_add_f32_e32 v126, v2, v132
	ds_bpermute_b32 v132, v48, v56
	v_cndmask_b32_e64 v2, -v28, v28, s0
	ds_bpermute_b32 v135, v48, v35
	v_cndmask_b32_e64 v28, -v207, v207, s0
	v_cndmask_b32_e64 v32, -v32, v32, s0
	;; [unrolled: 1-line block ×3, first 2 shown]
	s_waitcnt lgkmcnt(8)
	v_add_f32_e32 v149, v2, v130
	v_cndmask_b32_e64 v2, -v29, v29, s0
	ds_bpermute_b32 v130, v48, v36
	s_waitcnt lgkmcnt(7)
	v_add_f32_e32 v151, v28, v139
	v_cndmask_b32_e64 v28, -v56, v56, s0
	v_add_f32_e32 v152, v57, v140
	v_cndmask_b32_e64 v29, -v34, v34, s0
	v_cndmask_b32_e64 v34, -v35, v35, s0
	s_waitcnt lgkmcnt(5)
	v_add_f32_e32 v56, v2, v128
	ds_bpermute_b32 v128, v48, v40
	v_add_f32_e32 v178, v3, v33
	v_cndmask_b32_e64 v33, -v41, v41, s0
	s_waitcnt lgkmcnt(4)
	v_add_f32_e32 v2, v32, v136
	v_xor_b32_e32 v32, 8, v1
	s_waitcnt lgkmcnt(3)
	v_add_f32_e32 v57, v28, v132
	ds_bpermute_b32 v132, v48, v41
	ds_bpermute_b32 v41, v48, v148
	v_add_f32_e32 v28, v29, v134
	v_cmp_gt_i32_e64 s19, 32, v32
	v_and_b32_e32 v134, 8, v0
	ds_bpermute_b32 v35, v48, v30
	v_add_f32_e32 v176, v31, v137
	v_cndmask_b32_e64 v31, -v39, v39, s0
	v_cndmask_b32_e64 v3, v1, v32, s19
	v_cndmask_b32_e64 v32, -v40, v40, s0
	s_waitcnt lgkmcnt(5)
	v_add_f32_e32 v29, v34, v135
	v_cndmask_b32_e64 v34, -v36, v36, s0
	ds_bpermute_b32 v36, v48, v39
	s_waitcnt lgkmcnt(4)
	v_dual_add_f32 v154, v32, v128 :: v_dual_lshlrev_b32 v3, 2, v3
	v_cndmask_b32_e64 v32, -v148, v148, s0
	v_cmp_eq_u32_e64 s19, 0, v134
	ds_bpermute_b32 v39, v48, v133
	ds_bpermute_b32 v128, v3, v45
	;; [unrolled: 1-line block ×3, first 2 shown]
	s_waitcnt lgkmcnt(6)
	v_add_f32_e32 v155, v33, v132
	s_waitcnt lgkmcnt(5)
	v_add_f32_e32 v175, v32, v41
	v_cndmask_b32_e64 v32, -v45, v45, s19
	v_add_f32_e32 v179, v34, v130
	ds_bpermute_b32 v34, v48, v4
	ds_bpermute_b32 v130, v3, v42
	;; [unrolled: 1-line block ×3, first 2 shown]
	v_cndmask_b32_e64 v30, -v30, v30, s0
	v_cndmask_b32_e64 v4, -v4, v4, s0
	;; [unrolled: 1-line block ×3, first 2 shown]
	s_waitcnt lgkmcnt(6)
	v_add_f32_e32 v153, v31, v36
	ds_bpermute_b32 v36, v3, v43
	v_add_f32_e32 v180, v30, v35
	v_cndmask_b32_e64 v30, -v133, v133, s0
	v_cndmask_b32_e64 v31, -v147, v147, s0
	s_waitcnt lgkmcnt(5)
	v_add_f32_e32 v148, v32, v128
	v_cndmask_b32_e64 v32, -v49, v49, s19
	v_add_f32_e32 v173, v30, v39
	v_cndmask_b32_e64 v30, -v43, v43, s19
	s_waitcnt lgkmcnt(4)
	v_add_f32_e32 v174, v31, v40
	v_cndmask_b32_e64 v31, -v44, v44, s19
	s_waitcnt lgkmcnt(3)
	v_add_f32_e32 v177, v4, v34
	s_waitcnt lgkmcnt(2)
	v_add_f32_e32 v4, v33, v130
	v_cndmask_b32_e64 v33, -v46, v46, s19
	s_waitcnt lgkmcnt(0)
	v_add_f32_e32 v133, v30, v36
	s_delay_alu instid0(VALU_DEP_2)
	v_add_f32_e32 v30, v33, v132
	ds_bpermute_b32 v34, v3, v6
	ds_bpermute_b32 v40, v3, v49
	;; [unrolled: 1-line block ×10, first 2 shown]
	v_cndmask_b32_e64 v6, -v6, v6, s19
	ds_bpermute_b32 v36, v3, v7
	v_cndmask_b32_e64 v5, -v5, v5, s19
	v_cndmask_b32_e64 v33, -v50, v50, s19
	s_waitcnt lgkmcnt(10)
	v_add_f32_e32 v156, v6, v34
	s_waitcnt lgkmcnt(9)
	v_add_f32_e32 v158, v32, v40
	v_cndmask_b32_e64 v32, -v53, v53, s19
	v_cndmask_b32_e64 v34, -v55, v55, s19
	ds_bpermute_b32 v40, v3, v59
	s_waitcnt lgkmcnt(9)
	v_add_f32_e32 v5, v5, v35
	s_waitcnt lgkmcnt(8)
	v_add_f32_e32 v147, v31, v42
	v_cndmask_b32_e64 v31, -v47, v47, s19
	v_cndmask_b32_e64 v35, -v51, v51, s19
	s_waitcnt lgkmcnt(6)
	v_add_f32_e32 v162, v32, v44
	s_waitcnt lgkmcnt(5)
	v_add_f32_e32 v32, v34, v46
	ds_bpermute_b32 v46, v3, v65
	v_add_f32_e32 v159, v33, v41
	v_cndmask_b32_e64 v33, -v54, v54, s19
	v_cndmask_b32_e64 v6, -v7, v7, s19
	ds_bpermute_b32 v42, v3, v52
	ds_bpermute_b32 v41, v3, v60
	;; [unrolled: 1-line block ×3, first 2 shown]
	s_waitcnt lgkmcnt(6)
	v_add_f32_e32 v163, v33, v45
	ds_bpermute_b32 v45, v3, v64
	v_add_f32_e32 v157, v31, v39
	v_add_f32_e32 v31, v35, v43
	ds_bpermute_b32 v35, v3, v8
	ds_bpermute_b32 v43, v3, v61
	s_waitcnt lgkmcnt(8)
	v_add_f32_e32 v160, v6, v36
	v_cndmask_b32_e64 v6, -v8, v8, s19
	v_cndmask_b32_e64 v8, -v59, v59, s19
	ds_bpermute_b32 v36, v3, v9
	ds_bpermute_b32 v39, v3, v58
	v_cndmask_b32_e64 v7, -v52, v52, s19
	v_cndmask_b32_e64 v33, -v60, v60, s19
	s_waitcnt lgkmcnt(9)
	v_add_f32_e32 v166, v8, v40
	ds_bpermute_b32 v40, v3, v67
	v_cndmask_b32_e64 v34, -v61, v61, s19
	v_cndmask_b32_e64 v8, -v63, v63, s19
	ds_bpermute_b32 v47, v3, v85
	s_waitcnt lgkmcnt(8)
	v_add_f32_e32 v167, v33, v41
	ds_bpermute_b32 v41, v3, v68
	s_waitcnt lgkmcnt(6)
	v_add_f32_e32 v164, v6, v35
	v_cndmask_b32_e64 v6, -v9, v9, s19
	s_waitcnt lgkmcnt(5)
	v_add_f32_e32 v33, v34, v43
	v_cndmask_b32_e64 v9, -v64, v64, s19
	v_cndmask_b32_e64 v34, -v65, v65, s19
	ds_bpermute_b32 v35, v3, v10
	s_waitcnt lgkmcnt(5)
	v_add_f32_e32 v63, v6, v36
	v_add_f32_e32 v65, v8, v44
	v_cndmask_b32_e64 v6, -v10, v10, s19
	v_add_f32_e32 v161, v7, v42
	v_cndmask_b32_e64 v7, -v58, v58, s19
	ds_bpermute_b32 v42, v3, v62
	v_cndmask_b32_e64 v8, -v67, v67, s19
	v_add_f32_e32 v168, v9, v45
	v_cndmask_b32_e64 v9, -v68, v68, s19
	ds_bpermute_b32 v36, v3, v11
	ds_bpermute_b32 v44, v3, v71
	s_waitcnt lgkmcnt(6)
	v_add_f32_e32 v68, v8, v40
	v_cndmask_b32_e64 v8, -v71, v71, s19
	v_add_f32_e32 v165, v7, v39
	ds_bpermute_b32 v39, v3, v66
	v_cndmask_b32_e64 v7, -v62, v62, s19
	ds_bpermute_b32 v43, v3, v69
	v_add_f32_e32 v34, v34, v46
	ds_bpermute_b32 v46, v3, v73
	ds_bpermute_b32 v45, v3, v72
	v_cndmask_b32_e64 v10, -v69, v69, s19
	ds_bpermute_b32 v40, v3, v75
	s_waitcnt lgkmcnt(7)
	v_add_f32_e32 v64, v7, v42
	v_cndmask_b32_e64 v7, -v66, v66, s19
	ds_bpermute_b32 v42, v3, v70
	v_add_f32_e32 v66, v6, v35
	v_cndmask_b32_e64 v6, -v11, v11, s19
	ds_bpermute_b32 v11, v3, v12
	s_waitcnt lgkmcnt(6)
	v_add_f32_e32 v67, v7, v39
	v_cndmask_b32_e64 v7, -v70, v70, s19
	ds_bpermute_b32 v39, v3, v74
	v_add_f32_e32 v70, v6, v36
	v_cndmask_b32_e64 v6, -v12, v12, s19
	ds_bpermute_b32 v12, v3, v13
	s_waitcnt lgkmcnt(7)
	v_add_f32_e32 v35, v10, v43
	v_cndmask_b32_e64 v10, -v73, v73, s19
	ds_bpermute_b32 v43, v3, v77
	s_waitcnt lgkmcnt(7)
	v_add_f32_e32 v36, v10, v46
	s_waitcnt lgkmcnt(4)
	v_add_f32_e32 v71, v7, v42
	v_cndmask_b32_e64 v7, -v74, v74, s19
	v_cndmask_b32_e64 v10, -v77, v77, s19
	v_add_f32_e32 v69, v9, v41
	v_cndmask_b32_e64 v9, -v72, v72, s19
	ds_bpermute_b32 v41, v3, v76
	ds_bpermute_b32 v42, v3, v78
	s_waitcnt lgkmcnt(5)
	v_add_f32_e32 v74, v6, v11
	v_cndmask_b32_e64 v6, -v13, v13, s19
	ds_bpermute_b32 v11, v3, v14
	v_dual_add_f32 v72, v8, v44 :: v_dual_add_f32 v73, v9, v45
	v_cndmask_b32_e64 v8, -v75, v75, s19
	ds_bpermute_b32 v44, v3, v79
	ds_bpermute_b32 v45, v3, v80
	;; [unrolled: 1-line block ×3, first 2 shown]
	s_waitcnt lgkmcnt(8)
	v_add_f32_e32 v75, v7, v39
	v_cndmask_b32_e64 v7, -v78, v78, s19
	ds_bpermute_b32 v13, v3, v82
	s_waitcnt lgkmcnt(8)
	v_add_f32_e32 v78, v6, v12
	ds_bpermute_b32 v12, v3, v15
	v_cndmask_b32_e64 v9, -v76, v76, s19
	v_cndmask_b32_e64 v6, -v14, v14, s19
	v_add_f32_e32 v76, v8, v40
	s_waitcnt lgkmcnt(8)
	v_add_f32_e32 v40, v10, v43
	v_cndmask_b32_e64 v8, -v79, v79, s19
	s_waitcnt lgkmcnt(7)
	v_add_f32_e32 v77, v9, v41
	v_cndmask_b32_e64 v9, -v80, v80, s19
	v_cndmask_b32_e64 v10, -v81, v81, s19
	ds_bpermute_b32 v39, v3, v83
	ds_bpermute_b32 v43, v3, v84
	s_waitcnt lgkmcnt(8)
	v_add_f32_e32 v79, v7, v42
	v_cndmask_b32_e64 v7, -v82, v82, s19
	ds_bpermute_b32 v14, v3, v86
	s_waitcnt lgkmcnt(8)
	v_add_f32_e32 v82, v6, v11
	v_cndmask_b32_e64 v6, -v15, v15, s19
	ds_bpermute_b32 v11, v3, v16
	s_waitcnt lgkmcnt(8)
	v_add_f32_e32 v80, v8, v44
	v_cndmask_b32_e64 v8, -v83, v83, s19
	s_waitcnt lgkmcnt(5)
	v_add_f32_e32 v83, v7, v13
	v_cndmask_b32_e64 v7, -v86, v86, s19
	ds_bpermute_b32 v15, v3, v91
	v_add_f32_e32 v81, v9, v45
	ds_bpermute_b32 v45, v3, v88
	s_waitcnt lgkmcnt(6)
	v_add_f32_e32 v86, v6, v12
	v_cndmask_b32_e64 v6, -v16, v16, s19
	ds_bpermute_b32 v16, v3, v95
	v_add_f32_e32 v41, v10, v46
	ds_bpermute_b32 v46, v3, v89
	v_cndmask_b32_e64 v9, -v84, v84, s19
	v_cndmask_b32_e64 v10, -v85, v85, s19
	ds_bpermute_b32 v44, v3, v87
	s_waitcnt lgkmcnt(8)
	v_add_f32_e32 v84, v8, v39
	v_cndmask_b32_e64 v8, -v87, v87, s19
	ds_bpermute_b32 v13, v3, v90
	v_add_f32_e32 v42, v10, v47
	v_cndmask_b32_e64 v10, -v89, v89, s19
	ds_bpermute_b32 v39, v3, v92
	ds_bpermute_b32 v47, v3, v93
	s_waitcnt lgkmcnt(9)
	v_add_f32_e32 v87, v7, v14
	v_cndmask_b32_e64 v7, -v90, v90, s19
	ds_bpermute_b32 v12, v3, v17
	s_waitcnt lgkmcnt(9)
	v_add_f32_e32 v90, v6, v11
	v_cndmask_b32_e64 v6, -v17, v17, s19
	v_add_f32_e32 v85, v9, v43
	v_cndmask_b32_e64 v9, -v88, v88, s19
	ds_bpermute_b32 v14, v3, v94
	ds_bpermute_b32 v11, v3, v18
	s_waitcnt lgkmcnt(7)
	v_add_f32_e32 v43, v10, v46
	ds_bpermute_b32 v46, v3, v97
	v_add_f32_e32 v89, v9, v45
	ds_bpermute_b32 v45, v3, v96
	v_cndmask_b32_e64 v9, -v92, v92, s19
	v_cndmask_b32_e64 v10, -v93, v93, s19
	s_waitcnt lgkmcnt(8)
	v_add_f32_e32 v88, v8, v44
	v_cndmask_b32_e64 v8, -v91, v91, s19
	ds_bpermute_b32 v17, v3, v100
	s_waitcnt lgkmcnt(7)
	v_add_f32_e32 v93, v9, v39
	s_waitcnt lgkmcnt(6)
	v_add_f32_e32 v44, v10, v47
	v_cndmask_b32_e64 v9, -v96, v96, s19
	v_cndmask_b32_e64 v10, -v97, v97, s19
	ds_bpermute_b32 v39, v3, v101
	ds_bpermute_b32 v47, v3, v105
	v_add_f32_e32 v92, v8, v15
	v_cndmask_b32_e64 v8, -v95, v95, s19
	ds_bpermute_b32 v15, v3, v99
	v_add_f32_e32 v96, v8, v16
	v_cndmask_b32_e64 v8, -v99, v99, s19
	s_waitcnt lgkmcnt(4)
	v_add_f32_e32 v97, v9, v45
	v_add_f32_e32 v45, v10, v46
	v_cndmask_b32_e64 v10, -v101, v101, s19
	v_add_f32_e32 v91, v7, v13
	v_cndmask_b32_e64 v7, -v94, v94, s19
	ds_bpermute_b32 v13, v3, v98
	v_add_f32_e32 v94, v6, v12
	v_cndmask_b32_e64 v6, -v18, v18, s19
	ds_bpermute_b32 v12, v3, v19
	v_add_f32_e32 v95, v7, v14
	v_cndmask_b32_e64 v7, -v98, v98, s19
	s_waitcnt lgkmcnt(4)
	v_add_f32_e32 v46, v10, v39
	v_add_f32_e32 v98, v6, v11
	v_cndmask_b32_e64 v6, -v19, v19, s19
	ds_bpermute_b32 v19, v3, v109
	v_cndmask_b32_e64 v10, -v105, v105, s19
	v_cndmask_b32_e64 v9, -v100, v100, s19
	ds_bpermute_b32 v14, v3, v102
	ds_bpermute_b32 v18, v3, v104
	ds_bpermute_b32 v11, v3, v20
	s_waitcnt lgkmcnt(7)
	v_add_f32_e32 v47, v10, v47
	v_cndmask_b32_e64 v10, -v109, v109, s19
	ds_bpermute_b32 v16, v3, v103
	s_waitcnt lgkmcnt(7)
	v_add_f32_e32 v100, v8, v15
	ds_bpermute_b32 v15, v3, v107
	s_waitcnt lgkmcnt(7)
	v_add_f32_e32 v99, v7, v13
	v_cndmask_b32_e64 v7, -v102, v102, s19
	v_cndmask_b32_e64 v8, -v103, v103, s19
	s_waitcnt lgkmcnt(6)
	v_add_f32_e32 v102, v6, v12
	v_cndmask_b32_e64 v6, -v20, v20, s19
	ds_bpermute_b32 v20, v3, v113
	ds_bpermute_b32 v13, v3, v106
	;; [unrolled: 1-line block ×3, first 2 shown]
	s_waitcnt lgkmcnt(8)
	v_add_f32_e32 v49, v10, v19
	v_cndmask_b32_e64 v10, -v113, v113, s19
	v_add_f32_e32 v101, v9, v17
	ds_bpermute_b32 v17, v3, v108
	ds_bpermute_b32 v19, v3, v117
	v_cndmask_b32_e64 v9, -v104, v104, s19
	s_waitcnt lgkmcnt(9)
	v_add_f32_e32 v103, v7, v14
	ds_bpermute_b32 v14, v3, v110
	s_waitcnt lgkmcnt(7)
	v_add_f32_e32 v104, v8, v16
	v_cndmask_b32_e64 v8, -v107, v107, s19
	v_add_f32_e32 v105, v9, v18
	v_cndmask_b32_e64 v9, -v108, v108, s19
	ds_bpermute_b32 v18, v3, v112
	ds_bpermute_b32 v16, v3, v111
	s_waitcnt lgkmcnt(8)
	v_add_f32_e32 v108, v8, v15
	ds_bpermute_b32 v15, v3, v115
	s_waitcnt lgkmcnt(8)
	v_add_f32_e32 v50, v10, v20
	v_cndmask_b32_e64 v10, -v117, v117, s19
	ds_bpermute_b32 v20, v3, v121
	v_cndmask_b32_e64 v7, -v106, v106, s19
	v_add_f32_e32 v106, v6, v11
	ds_bpermute_b32 v11, v3, v22
	v_cndmask_b32_e64 v8, -v111, v111, s19
	v_cndmask_b32_e64 v6, -v21, v21, s19
	s_waitcnt lgkmcnt(6)
	v_add_f32_e32 v51, v10, v19
	v_cndmask_b32_e64 v10, -v121, v121, s19
	v_add_f32_e32 v109, v9, v17
	ds_bpermute_b32 v17, v3, v116
	ds_bpermute_b32 v19, v3, v125
	v_cndmask_b32_e64 v9, -v112, v112, s19
	v_add_f32_e32 v107, v7, v13
	v_cndmask_b32_e64 v7, -v110, v110, s19
	ds_bpermute_b32 v13, v3, v114
	s_waitcnt lgkmcnt(6)
	v_dual_add_f32 v112, v8, v16 :: v_dual_add_f32 v113, v9, v18
	v_cndmask_b32_e64 v9, -v116, v116, s19
	ds_bpermute_b32 v18, v3, v120
	v_cndmask_b32_e64 v8, -v115, v115, s19
	s_waitcnt lgkmcnt(5)
	v_add_f32_e32 v52, v10, v20
	v_cndmask_b32_e64 v10, -v125, v125, s19
	ds_bpermute_b32 v20, v3, v131
	ds_bpermute_b32 v16, v3, v119
	v_dual_add_f32 v110, v6, v12 :: v_dual_add_f32 v111, v7, v14
	v_cndmask_b32_e64 v6, -v22, v22, s19
	ds_bpermute_b32 v12, v3, v23
	ds_bpermute_b32 v14, v3, v118
	v_add_f32_e32 v116, v8, v15
	s_waitcnt lgkmcnt(6)
	v_add_f32_e32 v53, v10, v19
	v_cndmask_b32_e64 v10, -v131, v131, s19
	v_add_f32_e32 v117, v9, v17
	ds_bpermute_b32 v17, v3, v124
	v_cndmask_b32_e64 v9, -v120, v120, s19
	ds_bpermute_b32 v15, v3, v123
	v_cndmask_b32_e64 v7, -v114, v114, s19
	v_add_f32_e32 v114, v6, v11
	ds_bpermute_b32 v11, v3, v24
	s_waitcnt lgkmcnt(7)
	v_add_f32_e32 v121, v9, v18
	v_cndmask_b32_e64 v9, -v124, v124, s19
	ds_bpermute_b32 v18, v3, v129
	v_cndmask_b32_e64 v8, -v119, v119, s19
	v_add_f32_e32 v115, v7, v13
	v_cndmask_b32_e64 v6, -v23, v23, s19
	v_cndmask_b32_e64 v7, -v118, v118, s19
	ds_bpermute_b32 v13, v3, v122
	s_waitcnt lgkmcnt(7)
	v_add_f32_e32 v120, v8, v16
	v_cndmask_b32_e64 v8, -v123, v123, s19
	ds_bpermute_b32 v16, v3, v127
	s_waitcnt lgkmcnt(7)
	v_add_f32_e32 v118, v6, v12
	;; [unrolled: 4-line block ×3, first 2 shown]
	ds_bpermute_b32 v17, v3, v151
	v_cndmask_b32_e64 v9, -v129, v129, s19
	s_waitcnt lgkmcnt(6)
	v_add_f32_e32 v124, v8, v15
	ds_bpermute_b32 v15, v3, v150
	ds_bpermute_b32 v19, v3, v152
	v_add_f32_e32 v54, v10, v20
	v_cndmask_b32_e64 v10, -v152, v152, s19
	s_waitcnt lgkmcnt(6)
	v_add_f32_e32 v131, v9, v18
	v_cndmask_b32_e64 v9, -v151, v151, s19
	ds_bpermute_b32 v18, v3, v28
	v_cndmask_b32_e64 v8, -v127, v127, s19
	ds_bpermute_b32 v20, v3, v29
	s_waitcnt lgkmcnt(6)
	v_add_f32_e32 v129, v8, v16
	v_cndmask_b32_e64 v8, -v150, v150, s19
	ds_bpermute_b32 v16, v3, v57
	s_waitcnt lgkmcnt(5)
	v_add_f32_e32 v152, v9, v17
	ds_bpermute_b32 v9, v3, v2
	v_cndmask_b32_e64 v2, -v2, v2, s19
	v_add_f32_e32 v119, v7, v14
	ds_bpermute_b32 v14, v3, v126
	v_cndmask_b32_e64 v7, -v122, v122, s19
	;; [unrolled: 3-line block ×3, first 2 shown]
	v_cndmask_b32_e64 v17, -v28, v28, s19
	v_add_f32_e32 v123, v7, v13
	v_cndmask_b32_e64 v7, -v126, v126, s19
	ds_bpermute_b32 v13, v3, v149
	v_add_f32_e32 v126, v6, v12
	s_waitcnt lgkmcnt(6)
	v_add_f32_e32 v172, v17, v18
	v_cndmask_b32_e64 v6, -v26, v26, s19
	v_add_f32_e32 v151, v8, v15
	ds_bpermute_b32 v15, v3, v180
	v_cndmask_b32_e64 v17, -v180, v180, s19
	ds_bpermute_b32 v12, v3, v27
	v_add_f32_e32 v55, v10, v19
	v_cndmask_b32_e64 v8, -v57, v57, s19
	ds_bpermute_b32 v10, v3, v178
	v_cndmask_b32_e64 v19, -v29, v29, s19
	s_waitcnt lgkmcnt(5)
	v_add_f32_e32 v127, v7, v14
	ds_bpermute_b32 v14, v3, v56
	v_cndmask_b32_e64 v7, -v149, v149, s19
	s_waitcnt lgkmcnt(5)
	v_add_f32_e32 v149, v6, v11
	ds_bpermute_b32 v11, v3, v179
	v_cndmask_b32_e64 v6, -v27, v27, s19
	v_add_f32_e32 v171, v8, v16
	ds_bpermute_b32 v8, v3, v153
	s_waitcnt lgkmcnt(6)
	v_add_f32_e32 v150, v7, v13
	v_cndmask_b32_e64 v7, -v56, v56, s19
	ds_bpermute_b32 v13, v3, v176
	v_add_f32_e32 v56, v2, v9
	v_xor_b32_e32 v2, 16, v1
	v_cndmask_b32_e64 v16, -v176, v176, s19
	v_cndmask_b32_e64 v9, -v155, v155, s19
	s_waitcnt lgkmcnt(6)
	v_add_f32_e32 v60, v17, v15
	v_cmp_gt_i32_e64 s20, 32, v2
	s_waitcnt lgkmcnt(3)
	v_add_f32_e32 v170, v7, v14
	v_cndmask_b32_e64 v7, -v179, v179, s19
	ds_bpermute_b32 v14, v3, v155
	v_cndmask_b32_e64 v1, v1, v2, s20
	v_cndmask_b32_e64 v2, -v177, v177, s19
	s_waitcnt lgkmcnt(3)
	v_add_f32_e32 v58, v7, v11
	ds_bpermute_b32 v11, v3, v173
	v_add_f32_e32 v169, v6, v12
	ds_bpermute_b32 v12, v3, v154
	v_cndmask_b32_e64 v6, -v178, v178, s19
	v_cndmask_b32_e64 v7, -v154, v154, s19
	s_delay_alu instid0(VALU_DEP_2)
	v_add_f32_e32 v57, v6, v10
	v_cndmask_b32_e64 v6, -v153, v153, s19
	v_lshlrev_b32_e32 v153, 2, v1
	v_cndmask_b32_e64 v1, -v173, v173, s19
	ds_bpermute_b32 v10, v3, v177
	s_waitcnt lgkmcnt(5)
	v_add_f32_e32 v176, v6, v8
	v_and_b32_e32 v8, 16, v0
	v_cndmask_b32_e64 v6, -v174, v174, s19
	s_waitcnt lgkmcnt(3)
	v_add_f32_e32 v62, v9, v14
	ds_bpermute_b32 v9, v153, v4
	ds_bpermute_b32 v15, v153, v147
	s_waitcnt lgkmcnt(4)
	v_add_f32_e32 v154, v1, v11
	ds_bpermute_b32 v14, v153, v133
	s_waitcnt lgkmcnt(4)
	v_add_f32_e32 v61, v7, v12
	v_cndmask_b32_e64 v7, -v175, v175, s19
	v_cmp_eq_u32_e64 s19, 0, v8
	ds_bpermute_b32 v12, v153, v5
	ds_bpermute_b32 v11, v153, v30
	;; [unrolled: 1-line block ×3, first 2 shown]
	v_cndmask_b32_e64 v1, -v4, v4, s19
	v_cndmask_b32_e64 v4, -v147, v147, s19
	v_add_f32_e32 v39, v19, v20
	ds_bpermute_b32 v19, v153, v159
	v_add_f32_e32 v59, v16, v13
	ds_bpermute_b32 v13, v3, v174
	ds_bpermute_b32 v3, v3, v175
	;; [unrolled: 1-line block ×3, first 2 shown]
	s_waitcnt lgkmcnt(10)
	v_add_f32_e32 v174, v2, v10
	v_cndmask_b32_e64 v2, -v5, v5, s19
	v_cndmask_b32_e64 v10, -v148, v148, s19
	s_waitcnt lgkmcnt(9)
	v_add_f32_e32 v5, v1, v9
	v_cndmask_b32_e64 v9, -v158, v158, s19
	s_waitcnt lgkmcnt(8)
	v_add_f32_e32 v8, v4, v15
	;; [unrolled: 3-line block ×4, first 2 shown]
	s_waitcnt lgkmcnt(1)
	v_add_f32_e32 v173, v7, v3
	v_cndmask_b32_e64 v3, -v133, v133, s19
	ds_bpermute_b32 v13, v153, v156
	v_add_f32_e32 v6, v2, v12
	s_waitcnt lgkmcnt(1)
	v_add_f32_e32 v1, v10, v16
	ds_bpermute_b32 v12, v153, v31
	v_add_f32_e32 v7, v3, v14
	ds_bpermute_b32 v14, v153, v160
	ds_bpermute_b32 v16, v153, v162
	v_cndmask_b32_e64 v2, -v30, v30, s19
	v_cndmask_b32_e64 v3, -v156, v156, s19
	v_cndmask_b32_e64 v10, -v159, v159, s19
	s_delay_alu instid0(VALU_DEP_3) | instskip(SKIP_1) | instid1(VALU_DEP_3)
	v_add_f32_e32 v2, v2, v11
	v_cndmask_b32_e64 v11, -v31, v31, s19
	v_add_f32_e32 v10, v10, v19
	v_cndmask_b32_e64 v19, -v163, v163, s19
	v_cndmask_b32_e64 v31, -v168, v168, s19
	s_waitcnt lgkmcnt(3)
	v_add_f32_e32 v3, v3, v13
	v_cndmask_b32_e64 v13, -v160, v160, s19
	s_waitcnt lgkmcnt(1)
	s_delay_alu instid0(VALU_DEP_1)
	v_dual_add_f32 v11, v11, v12 :: v_dual_add_f32 v12, v13, v14
	s_waitcnt lgkmcnt(0)
	v_add_f32_e32 v14, v18, v16
	ds_bpermute_b32 v17, v153, v157
	ds_bpermute_b32 v15, v153, v161
	;; [unrolled: 1-line block ×12, first 2 shown]
	v_cndmask_b32_e64 v16, -v32, v32, s19
	ds_bpermute_b32 v29, v153, v65
	ds_bpermute_b32 v32, v153, v34
	v_cndmask_b32_e64 v18, -v165, v165, s19
	ds_bpermute_b32 v128, v153, v89
	ds_bpermute_b32 v130, v153, v120
	;; [unrolled: 1-line block ×4, first 2 shown]
	s_waitcnt lgkmcnt(17)
	v_add_f32_e32 v4, v4, v17
	v_cndmask_b32_e64 v17, -v161, v161, s19
	ds_bpermute_b32 v138, v153, v59
	v_cndmask_b32_e64 v59, -v59, v59, s19
	s_waitcnt lgkmcnt(14)
	v_add_f32_e32 v16, v16, v21
	v_cndmask_b32_e64 v21, -v33, v33, s19
	v_add_f32_e32 v13, v17, v15
	v_add_f32_e32 v15, v19, v20
	v_cndmask_b32_e64 v19, -v166, v166, s19
	v_cndmask_b32_e64 v17, -v164, v164, s19
	;; [unrolled: 1-line block ×3, first 2 shown]
	s_waitcnt lgkmcnt(12)
	v_add_f32_e32 v18, v18, v23
	v_cndmask_b32_e64 v23, -v64, v64, s19
	v_add_f32_e32 v19, v19, v24
	v_cndmask_b32_e64 v24, -v65, v65, s19
	ds_bpermute_b32 v65, v153, v69
	v_add_f32_e32 v17, v17, v22
	v_cndmask_b32_e64 v22, -v63, v63, s19
	ds_bpermute_b32 v33, v153, v66
	ds_bpermute_b32 v63, v153, v67
	s_waitcnt lgkmcnt(13)
	v_dual_add_f32 v20, v20, v25 :: v_dual_add_f32 v25, v21, v26
	s_waitcnt lgkmcnt(11)
	v_dual_add_f32 v26, v22, v27 :: v_dual_add_f32 v27, v23, v28
	s_waitcnt lgkmcnt(10)
	v_add_f32_e32 v21, v31, v30
	v_cndmask_b32_e64 v22, -v34, v34, s19
	v_cndmask_b32_e64 v23, -v66, v66, s19
	v_cndmask_b32_e64 v30, -v69, v69, s19
	ds_bpermute_b32 v31, v153, v35
	ds_bpermute_b32 v34, v153, v70
	;; [unrolled: 1-line block ×4, first 2 shown]
	s_waitcnt lgkmcnt(12)
	v_add_f32_e32 v22, v22, v32
	v_cndmask_b32_e64 v32, -v35, v35, s19
	v_cndmask_b32_e64 v35, -v71, v71, s19
	s_waitcnt lgkmcnt(6)
	v_add_f32_e32 v30, v30, v65
	ds_bpermute_b32 v65, v153, v36
	ds_bpermute_b32 v71, v153, v76
	v_add_f32_e32 v28, v24, v29
	v_cndmask_b32_e64 v24, -v67, v67, s19
	v_cndmask_b32_e64 v29, -v68, v68, s19
	ds_bpermute_b32 v67, v153, v72
	ds_bpermute_b32 v68, v153, v73
	s_waitcnt lgkmcnt(8)
	v_dual_add_f32 v23, v23, v33 :: v_dual_add_f32 v24, v24, v63
	v_cndmask_b32_e64 v33, -v70, v70, s19
	v_cndmask_b32_e64 v63, -v72, v72, s19
	ds_bpermute_b32 v70, v153, v75
	ds_bpermute_b32 v72, v153, v77
	s_waitcnt lgkmcnt(8)
	v_dual_add_f32 v31, v32, v31 :: v_dual_add_f32 v32, v33, v34
	s_waitcnt lgkmcnt(7)
	v_add_f32_e32 v33, v35, v66
	v_cndmask_b32_e64 v36, -v36, v36, s19
	v_cndmask_b32_e64 v66, -v76, v76, s19
	ds_bpermute_b32 v69, v153, v74
	ds_bpermute_b32 v76, v153, v81
	;; [unrolled: 1-line block ×3, first 2 shown]
	s_waitcnt lgkmcnt(7)
	v_dual_add_f32 v36, v36, v65 :: v_dual_add_f32 v65, v66, v71
	v_cndmask_b32_e64 v71, -v80, v80, s19
	v_add_f32_e32 v29, v29, v64
	v_cndmask_b32_e64 v64, -v73, v73, s19
	s_waitcnt lgkmcnt(6)
	v_add_f32_e32 v34, v63, v67
	v_cndmask_b32_e64 v63, -v74, v74, s19
	v_cndmask_b32_e64 v67, -v77, v77, s19
	ds_bpermute_b32 v73, v153, v78
	s_waitcnt lgkmcnt(6)
	v_add_f32_e32 v35, v64, v68
	v_cndmask_b32_e64 v64, -v75, v75, s19
	ds_bpermute_b32 v68, v153, v40
	ds_bpermute_b32 v74, v153, v79
	;; [unrolled: 1-line block ×3, first 2 shown]
	s_waitcnt lgkmcnt(7)
	v_add_f32_e32 v66, v67, v72
	v_add_f32_e32 v64, v64, v70
	v_cndmask_b32_e64 v70, -v79, v79, s19
	v_cndmask_b32_e64 v72, -v81, v81, s19
	ds_bpermute_b32 v79, v153, v83
	ds_bpermute_b32 v81, v153, v85
	s_waitcnt lgkmcnt(8)
	v_add_f32_e32 v63, v63, v69
	v_cndmask_b32_e64 v40, -v40, v40, s19
	v_cndmask_b32_e64 v69, -v78, v78, s19
	ds_bpermute_b32 v77, v153, v41
	ds_bpermute_b32 v78, v153, v82
	;; [unrolled: 1-line block ×3, first 2 shown]
	v_cndmask_b32_e64 v57, -v57, v57, s19
	ds_bpermute_b32 v135, v153, v56
	ds_bpermute_b32 v134, v153, v172
	;; [unrolled: 1-line block ×4, first 2 shown]
	s_waitcnt lgkmcnt(11)
	v_dual_add_f32 v67, v40, v68 :: v_dual_add_f32 v68, v69, v73
	s_waitcnt lgkmcnt(9)
	v_dual_add_f32 v69, v70, v74 :: v_dual_add_f32 v70, v71, v75
	v_add_f32_e32 v71, v72, v76
	v_cndmask_b32_e64 v40, -v41, v41, s19
	v_cndmask_b32_e64 v41, -v82, v82, s19
	;; [unrolled: 1-line block ×4, first 2 shown]
	ds_bpermute_b32 v82, v153, v42
	v_cndmask_b32_e64 v75, -v84, v84, s19
	ds_bpermute_b32 v84, v153, v87
	ds_bpermute_b32 v85, v153, v88
	s_waitcnt lgkmcnt(11)
	v_add_f32_e32 v74, v74, v79
	s_waitcnt lgkmcnt(10)
	v_add_f32_e32 v76, v76, v81
	v_cndmask_b32_e64 v79, -v88, v88, s19
	ds_bpermute_b32 v81, v153, v43
	ds_bpermute_b32 v88, v153, v92
	;; [unrolled: 1-line block ×3, first 2 shown]
	s_waitcnt lgkmcnt(12)
	v_add_f32_e32 v72, v40, v77
	v_cndmask_b32_e64 v40, -v42, v42, s19
	v_cndmask_b32_e64 v42, -v87, v87, s19
	ds_bpermute_b32 v87, v153, v91
	s_waitcnt lgkmcnt(11)
	v_add_f32_e32 v75, v75, v80
	v_cndmask_b32_e64 v80, -v89, v89, s19
	v_cndmask_b32_e64 v43, -v43, v43, s19
	ds_bpermute_b32 v89, v153, v93
	ds_bpermute_b32 v140, v153, v173
	v_cndmask_b32_e64 v58, -v58, v58, s19
	s_waitcnt lgkmcnt(8)
	v_add_f32_e32 v77, v40, v82
	v_cndmask_b32_e64 v82, -v92, v92, s19
	s_waitcnt lgkmcnt(7)
	v_add_f32_e32 v40, v42, v84
	v_add_f32_e32 v42, v80, v128
	v_cndmask_b32_e64 v80, -v91, v91, s19
	ds_bpermute_b32 v91, v153, v96
	ds_bpermute_b32 v128, v153, v105
	s_waitcnt lgkmcnt(7)
	v_add_f32_e32 v43, v43, v81
	s_waitcnt lgkmcnt(6)
	v_add_f32_e32 v81, v82, v88
	v_cndmask_b32_e64 v88, -v96, v96, s19
	v_add_f32_e32 v73, v41, v78
	v_cndmask_b32_e64 v41, -v86, v86, s19
	ds_bpermute_b32 v86, v153, v90
	ds_bpermute_b32 v84, v153, v44
	;; [unrolled: 1-line block ×3, first 2 shown]
	s_waitcnt lgkmcnt(7)
	v_add_f32_e32 v80, v80, v87
	v_dual_add_f32 v78, v41, v83 :: v_dual_add_f32 v41, v79, v85
	v_cndmask_b32_e64 v79, -v90, v90, s19
	ds_bpermute_b32 v85, v153, v94
	ds_bpermute_b32 v90, v153, v95
	v_cndmask_b32_e64 v87, -v95, v95, s19
	ds_bpermute_b32 v95, v153, v99
	v_cndmask_b32_e64 v83, -v93, v93, s19
	v_cndmask_b32_e64 v44, -v44, v44, s19
	ds_bpermute_b32 v93, v153, v45
	ds_bpermute_b32 v96, v153, v100
	s_waitcnt lgkmcnt(11)
	v_add_f32_e32 v82, v83, v89
	v_cndmask_b32_e64 v89, -v97, v97, s19
	ds_bpermute_b32 v97, v153, v101
	s_waitcnt lgkmcnt(8)
	v_add_f32_e32 v79, v79, v86
	v_cndmask_b32_e64 v86, -v94, v94, s19
	;; [unrolled: 4-line block ×3, first 2 shown]
	v_cndmask_b32_e64 v45, -v98, v98, s19
	ds_bpermute_b32 v98, v153, v46
	s_waitcnt lgkmcnt(6)
	v_dual_add_f32 v84, v86, v85 :: v_dual_add_f32 v85, v87, v90
	v_add_f32_e32 v87, v89, v92
	v_cndmask_b32_e64 v90, -v99, v99, s19
	v_cndmask_b32_e64 v92, -v101, v101, s19
	ds_bpermute_b32 v99, v153, v102
	ds_bpermute_b32 v101, v153, v104
	v_add_f32_e32 v86, v88, v91
	s_waitcnt lgkmcnt(7)
	v_add_f32_e32 v90, v90, v95
	v_cndmask_b32_e64 v95, -v104, v104, s19
	ds_bpermute_b32 v104, v153, v108
	s_waitcnt lgkmcnt(5)
	v_add_f32_e32 v92, v92, v97
	ds_bpermute_b32 v97, v153, v47
	v_cndmask_b32_e64 v91, -v100, v100, s19
	ds_bpermute_b32 v100, v153, v103
	s_waitcnt lgkmcnt(6)
	v_add_f32_e32 v89, v45, v94
	v_cndmask_b32_e64 v45, -v102, v102, s19
	ds_bpermute_b32 v102, v153, v106
	v_cndmask_b32_e64 v47, -v47, v47, s19
	v_add_f32_e32 v88, v44, v93
	v_cndmask_b32_e64 v44, -v46, v46, s19
	v_cndmask_b32_e64 v46, -v103, v103, s19
	ds_bpermute_b32 v103, v153, v107
	s_waitcnt lgkmcnt(5)
	v_dual_add_f32 v94, v45, v99 :: v_dual_add_f32 v45, v95, v101
	v_cndmask_b32_e64 v95, -v106, v106, s19
	v_cndmask_b32_e64 v99, -v108, v108, s19
	ds_bpermute_b32 v106, v153, v110
	ds_bpermute_b32 v101, v153, v49
	;; [unrolled: 1-line block ×3, first 2 shown]
	s_waitcnt lgkmcnt(6)
	v_add_f32_e32 v47, v47, v97
	v_add_f32_e32 v99, v99, v104
	v_cndmask_b32_e64 v104, -v112, v112, s19
	ds_bpermute_b32 v112, v153, v115
	v_cndmask_b32_e64 v49, -v49, v49, s19
	s_waitcnt lgkmcnt(5)
	v_add_f32_e32 v97, v95, v102
	v_cndmask_b32_e64 v95, -v110, v110, s19
	ds_bpermute_b32 v110, v153, v50
	v_dual_add_f32 v93, v44, v98 :: v_dual_add_f32 v44, v46, v100
	v_cndmask_b32_e64 v100, -v109, v109, s19
	s_waitcnt lgkmcnt(4)
	v_add_f32_e32 v102, v95, v106
	v_cndmask_b32_e64 v95, -v115, v115, s19
	s_waitcnt lgkmcnt(2)
	v_add_f32_e32 v104, v104, v108
	ds_bpermute_b32 v115, v153, v51
	s_waitcnt lgkmcnt(2)
	v_add_f32_e32 v108, v95, v112
	v_cndmask_b32_e64 v95, -v120, v120, s19
	ds_bpermute_b32 v120, v153, v125
	v_add_f32_e32 v101, v49, v101
	v_cndmask_b32_e64 v49, -v50, v50, s19
	v_add_f32_e32 v91, v91, v96
	v_cndmask_b32_e64 v96, -v105, v105, s19
	ds_bpermute_b32 v105, v153, v109
	ds_bpermute_b32 v109, v153, v113
	s_waitcnt lgkmcnt(4)
	v_add_f32_e32 v106, v49, v110
	v_cndmask_b32_e64 v50, -v114, v114, s19
	v_add_f32_e32 v46, v96, v128
	v_cndmask_b32_e64 v96, -v107, v107, s19
	ds_bpermute_b32 v107, v153, v111
	ds_bpermute_b32 v128, v153, v117
	v_cndmask_b32_e64 v49, -v51, v51, s19
	v_cndmask_b32_e64 v51, -v119, v119, s19
	v_add_f32_e32 v98, v96, v103
	v_cndmask_b32_e64 v96, -v111, v111, s19
	ds_bpermute_b32 v111, v153, v114
	v_cndmask_b32_e64 v114, -v117, v117, s19
	ds_bpermute_b32 v117, v153, v119
	ds_bpermute_b32 v119, v153, v124
	s_waitcnt lgkmcnt(6)
	v_add_f32_e32 v100, v100, v105
	v_cndmask_b32_e64 v105, -v113, v113, s19
	ds_bpermute_b32 v113, v153, v116
	s_waitcnt lgkmcnt(5)
	v_add_f32_e32 v103, v96, v107
	v_cndmask_b32_e64 v96, -v116, v116, s19
	ds_bpermute_b32 v116, v153, v118
	s_waitcnt lgkmcnt(5)
	v_add_f32_e32 v110, v114, v128
	ds_bpermute_b32 v114, v153, v122
	ds_bpermute_b32 v128, v153, v150
	s_waitcnt lgkmcnt(6)
	v_add_f32_e32 v107, v50, v111
	v_cndmask_b32_e64 v50, -v118, v118, s19
	v_add_f32_e32 v105, v105, v109
	ds_bpermute_b32 v118, v153, v123
	v_add_f32_e32 v111, v49, v115
	s_waitcnt lgkmcnt(6)
	v_add_f32_e32 v49, v51, v117
	ds_bpermute_b32 v117, v153, v53
	v_cndmask_b32_e64 v115, -v124, v124, s19
	ds_bpermute_b32 v124, v153, v131
	v_cndmask_b32_e64 v53, -v53, v53, s19
	s_waitcnt lgkmcnt(5)
	v_dual_add_f32 v115, v115, v119 :: v_dual_add_f32 v112, v50, v116
	v_add_f32_e32 v50, v95, v130
	ds_bpermute_b32 v130, v153, v152
	v_add_f32_e32 v109, v96, v113
	ds_bpermute_b32 v113, v153, v52
	v_cndmask_b32_e64 v96, -v121, v121, s19
	ds_bpermute_b32 v121, v153, v126
	v_cndmask_b32_e64 v95, -v122, v122, s19
	;; [unrolled: 2-line block ×3, first 2 shown]
	v_add_f32_e32 v51, v96, v132
	v_cndmask_b32_e64 v96, -v123, v123, s19
	ds_bpermute_b32 v123, v153, v129
	s_waitcnt lgkmcnt(6)
	v_add_f32_e32 v117, v53, v117
	v_cndmask_b32_e64 v53, -v54, v54, s19
	v_cndmask_b32_e64 v116, -v125, v125, s19
	;; [unrolled: 1-line block ×3, first 2 shown]
	s_delay_alu instid0(VALU_DEP_2)
	v_add_f32_e32 v116, v116, v120
	v_cndmask_b32_e64 v120, -v129, v129, s19
	ds_bpermute_b32 v129, v153, v151
	s_waitcnt lgkmcnt(4)
	v_dual_add_f32 v52, v52, v113 :: v_dual_add_f32 v113, v95, v114
	v_cndmask_b32_e64 v95, -v126, v126, s19
	v_add_f32_e32 v114, v96, v118
	v_cndmask_b32_e64 v96, -v127, v127, s19
	ds_bpermute_b32 v126, v153, v54
	ds_bpermute_b32 v127, v153, v149
	s_waitcnt lgkmcnt(5)
	v_add_f32_e32 v118, v95, v121
	v_cndmask_b32_e64 v121, -v152, v152, s19
	s_waitcnt lgkmcnt(4)
	v_add_f32_e32 v119, v96, v122
	ds_bpermute_b32 v122, v153, v55
	s_waitcnt lgkmcnt(4)
	v_add_f32_e32 v120, v120, v123
	ds_bpermute_b32 v123, v153, v169
	v_add_f32_e32 v130, v121, v130
	ds_bpermute_b32 v121, v153, v39
	v_cndmask_b32_e64 v39, -v39, v39, s19
	v_cndmask_b32_e64 v54, -v149, v149, s19
	;; [unrolled: 1-line block ×4, first 2 shown]
	s_delay_alu instid0(VALU_DEP_2) | instskip(SKIP_2) | instid1(VALU_DEP_3)
	v_add_f32_e32 v128, v95, v128
	v_cndmask_b32_e64 v95, -v171, v171, s19
	s_waitcnt lgkmcnt(4)
	v_dual_add_f32 v129, v96, v129 :: v_dual_add_f32 v126, v53, v126
	v_cndmask_b32_e64 v53, -v55, v55, s19
	v_cndmask_b32_e64 v55, -v170, v170, s19
	;; [unrolled: 1-line block ×3, first 2 shown]
	s_waitcnt lgkmcnt(2)
	s_delay_alu instid0(VALU_DEP_3)
	v_add_f32_e32 v131, v53, v122
	v_cndmask_b32_e64 v122, -v56, v56, s19
	s_waitcnt lgkmcnt(0)
	v_add_f32_e32 v56, v39, v121
	ds_bpermute_b32 v121, v153, v154
	v_add_f32_e32 v125, v125, v124
	ds_bpermute_b32 v124, v153, v170
	v_cndmask_b32_e64 v39, -v60, v60, s19
	s_waitcnt lgkmcnt(0)
	v_add_f32_e32 v53, v55, v124
	ds_bpermute_b32 v124, v153, v62
	v_add_f32_e32 v127, v54, v127
	v_cndmask_b32_e64 v54, -v169, v169, s19
	v_add_f32_e32 v55, v96, v134
	ds_bpermute_b32 v96, v153, v176
	v_add_f32_e32 v134, v57, v136
	v_add_f32_e32 v136, v59, v138
	;; [unrolled: 1-line block ×4, first 2 shown]
	ds_bpermute_b32 v95, v153, v60
	ds_bpermute_b32 v123, v153, v61
	v_add_f32_e32 v133, v122, v135
	ds_bpermute_b32 v122, v153, v155
	v_cndmask_b32_e64 v60, -v62, v62, s19
	v_dual_add_f32 v135, v58, v137 :: v_dual_and_b32 v62, 7, v0
	v_cndmask_b32_e64 v58, -v176, v176, s19
	s_waitcnt lgkmcnt(4)
	s_delay_alu instid0(VALU_DEP_3) | instskip(SKIP_1) | instid1(VALU_DEP_2)
	v_add_f32_e32 v60, v60, v124
	s_waitcnt lgkmcnt(3)
	v_add_f32_e32 v58, v58, v96
	v_cndmask_b32_e64 v96, -v155, v155, s19
	s_waitcnt lgkmcnt(2)
	v_add_f32_e32 v57, v39, v95
	v_cndmask_b32_e64 v39, -v61, v61, s19
	v_cndmask_b32_e64 v61, -v174, v174, s19
	v_lshrrev_b32_e32 v95, 3, v0
	s_waitcnt lgkmcnt(1)
	s_delay_alu instid0(VALU_DEP_3) | instskip(NEXT) | instid1(VALU_DEP_3)
	v_add_f32_e32 v59, v39, v123
	v_add_f32_e32 v137, v61, v139
	v_lshrrev_b32_e32 v39, 5, v0
	v_lshl_or_b32 v61, v62, 5, v95
	s_waitcnt lgkmcnt(0)
	v_add_f32_e32 v139, v96, v122
	v_cndmask_b32_e64 v95, -v154, v154, s19
	v_cndmask_b32_e64 v123, -v173, v173, s19
	v_xor_b32_e32 v0, v39, v0
	v_xor_b32_e32 v39, v61, v62
	s_delay_alu instid0(VALU_DEP_4) | instskip(NEXT) | instid1(VALU_DEP_4)
	v_add_f32_e32 v138, v95, v121
	v_add_f32_e32 v140, v123, v140
	s_delay_alu instid0(VALU_DEP_4) | instskip(NEXT) | instid1(VALU_DEP_4)
	v_lshl_add_u32 v124, v0, 4, 0
	v_lshl_add_u32 v96, v39, 4, 0
	ds_store_b128 v124, v[5:8]
	ds_store_b128 v124, v[1:4] offset:4096
	ds_store_b128 v124, v[9:12] offset:8192
	;; [unrolled: 1-line block ×7, first 2 shown]
	s_waitcnt lgkmcnt(0)
	s_barrier
	buffer_gl0_inv
	ds_load_b128 v[141:144], v96
	ds_load_b128 v[147:150], v96 offset:4096
	ds_load_b128 v[151:154], v96 offset:8192
	;; [unrolled: 1-line block ×7, first 2 shown]
	s_waitcnt lgkmcnt(0)
	s_barrier
	buffer_gl0_inv
	ds_store_b128 v124, v[33:36]
	ds_store_b128 v124, v[63:66] offset:4096
	ds_store_b128 v124, v[67:70] offset:8192
	;; [unrolled: 1-line block ×7, first 2 shown]
	s_waitcnt lgkmcnt(0)
	s_barrier
	buffer_gl0_inv
	ds_load_b128 v[61:64], v96
	ds_load_b128 v[65:68], v96 offset:4096
	ds_load_b128 v[69:72], v96 offset:8192
	;; [unrolled: 1-line block ×7, first 2 shown]
	s_waitcnt lgkmcnt(0)
	s_barrier
	buffer_gl0_inv
	ds_store_b128 v124, v[87:90]
	ds_store_b128 v124, v[91:94] offset:4096
	ds_store_b128 v124, v[44:47] offset:8192
	;; [unrolled: 1-line block ×7, first 2 shown]
	ds_bpermute_b32 v32, v37, v141
	ds_bpermute_b32 v34, v37, v142
	;; [unrolled: 1-line block ×10, first 2 shown]
	v_cndmask_b32_e64 v33, -v141, v141, s1
	ds_bpermute_b32 v50, v37, v153
	v_cndmask_b32_e64 v41, -v143, v143, s1
	v_cndmask_b32_e64 v42, -v144, v144, s1
	v_cndmask_b32_e64 v43, -v147, v147, s1
	v_cndmask_b32_e64 v44, -v148, v148, s1
	ds_bpermute_b32 v51, v37, v156
	ds_bpermute_b32 v52, v37, v157
	s_waitcnt lgkmcnt(0)
	s_barrier
	v_add_f32_e32 v32, v33, v32
	v_cndmask_b32_e64 v33, -v142, v142, s1
	v_add_f32_e32 v90, v41, v35
	v_cndmask_b32_e64 v41, -v152, v152, s1
	buffer_gl0_inv
	v_add_f32_e32 v35, v44, v40
	v_add_f32_e32 v89, v33, v34
	v_dual_add_f32 v33, v42, v36 :: v_dual_add_f32 v34, v43, v39
	v_cndmask_b32_e64 v36, -v149, v149, s1
	v_cndmask_b32_e64 v39, -v150, v150, s1
	;; [unrolled: 1-line block ×3, first 2 shown]
	ds_bpermute_b32 v43, v37, v154
	ds_bpermute_b32 v44, v37, v155
	ds_load_b128 v[85:88], v96
	ds_load_b128 v[183:186], v96 offset:4096
	ds_load_b128 v[187:190], v96 offset:8192
	;; [unrolled: 1-line block ×7, first 2 shown]
	s_waitcnt lgkmcnt(0)
	s_barrier
	buffer_gl0_inv
	v_cndmask_b32_e64 v42, -v153, v153, s1
	v_dual_add_f32 v91, v36, v45 :: v_dual_add_f32 v92, v39, v46
	v_add_f32_e32 v36, v40, v47
	ds_store_b128 v124, v[113:116]
	ds_store_b128 v124, v[117:120] offset:4096
	ds_store_b128 v124, v[125:128] offset:8192
	;; [unrolled: 1-line block ×5, first 2 shown]
	ds_bpermute_b32 v53, v37, v158
	ds_bpermute_b32 v54, v37, v161
	;; [unrolled: 1-line block ×4, first 2 shown]
	v_add_f32_e32 v39, v41, v49
	ds_bpermute_b32 v49, v37, v159
	v_add_f32_e32 v40, v42, v50
	ds_bpermute_b32 v50, v37, v160
	ds_bpermute_b32 v55, v37, v162
	v_cndmask_b32_e64 v41, -v154, v154, s1
	v_cndmask_b32_e64 v42, -v155, v155, s1
	;; [unrolled: 1-line block ×5, first 2 shown]
	s_delay_alu instid0(VALU_DEP_4) | instskip(SKIP_1) | instid1(VALU_DEP_4)
	v_dual_add_f32 v93, v41, v43 :: v_dual_add_f32 v94, v42, v44
	v_cndmask_b32_e64 v44, -v159, v159, s1
	v_add_f32_e32 v42, v46, v52
	v_cndmask_b32_e64 v46, -v161, v161, s1
	ds_bpermute_b32 v104, v37, v62
	v_add_f32_e32 v41, v45, v51
	v_cndmask_b32_e64 v51, -v163, v163, s1
	v_cndmask_b32_e64 v45, -v160, v160, s1
	ds_bpermute_b32 v52, v37, v164
	ds_bpermute_b32 v106, v37, v64
	s_waitcnt lgkmcnt(9)
	v_add_f32_e32 v43, v47, v53
	v_cndmask_b32_e64 v47, -v162, v162, s1
	ds_bpermute_b32 v53, v37, v165
	s_waitcnt lgkmcnt(6)
	v_dual_add_f32 v95, v44, v49 :: v_dual_add_f32 v44, v46, v54
	v_add_f32_e32 v46, v51, v56
	ds_store_b128 v124, v[57:60] offset:24576
	ds_store_b128 v124, v[137:140] offset:28672
	ds_bpermute_b32 v58, v37, v167
	ds_bpermute_b32 v57, v37, v166
	;; [unrolled: 1-line block ×3, first 2 shown]
	s_waitcnt lgkmcnt(10)
	v_add_f32_e32 v97, v45, v50
	s_waitcnt lgkmcnt(9)
	v_add_f32_e32 v45, v47, v55
	ds_bpermute_b32 v55, v37, v169
	ds_bpermute_b32 v56, v37, v170
	ds_bpermute_b32 v60, v37, v171
	ds_bpermute_b32 v103, v37, v173
	v_cndmask_b32_e64 v47, -v164, v164, s1
	v_cndmask_b32_e64 v49, -v165, v165, s1
	;; [unrolled: 1-line block ×5, first 2 shown]
	s_waitcnt lgkmcnt(9)
	v_dual_add_f32 v98, v47, v52 :: v_dual_add_f32 v99, v49, v53
	v_cndmask_b32_e64 v52, -v170, v170, s1
	v_cndmask_b32_e64 v53, -v171, v171, s1
	ds_bpermute_b32 v105, v37, v63
	ds_bpermute_b32 v108, v37, v74
	s_waitcnt lgkmcnt(8)
	v_add_f32_e32 v49, v51, v58
	v_cndmask_b32_e64 v51, -v169, v169, s1
	ds_bpermute_b32 v58, v37, v174
	s_waitcnt lgkmcnt(8)
	v_add_f32_e32 v47, v50, v57
	s_waitcnt lgkmcnt(7)
	v_add_f32_e32 v50, v54, v59
	v_cndmask_b32_e64 v57, -v173, v173, s1
	ds_bpermute_b32 v59, v37, v61
	s_waitcnt lgkmcnt(6)
	v_dual_add_f32 v100, v51, v55 :: v_dual_add_f32 v101, v52, v56
	s_waitcnt lgkmcnt(5)
	v_add_f32_e32 v51, v53, v60
	v_cndmask_b32_e64 v56, -v62, v62, s1
	v_cndmask_b32_e64 v60, -v64, v64, s1
	ds_bpermute_b32 v62, v37, v66
	ds_bpermute_b32 v64, v37, v68
	v_cndmask_b32_e64 v54, -v172, v172, s1
	s_waitcnt lgkmcnt(6)
	v_add_f32_e32 v53, v57, v103
	v_cndmask_b32_e64 v55, -v61, v61, s1
	v_cndmask_b32_e64 v57, -v63, v63, s1
	ds_bpermute_b32 v61, v37, v65
	ds_bpermute_b32 v63, v37, v67
	;; [unrolled: 1-line block ×3, first 2 shown]
	v_add_f32_e32 v52, v54, v102
	v_cndmask_b32_e64 v54, -v174, v174, s1
	ds_bpermute_b32 v120, v37, v190
	ds_bpermute_b32 v127, v37, v198
	;; [unrolled: 1-line block ×3, first 2 shown]
	s_waitcnt lgkmcnt(8)
	v_dual_add_f32 v103, v55, v59 :: v_dual_add_f32 v102, v54, v58
	v_add_f32_e32 v54, v56, v104
	v_add_f32_e32 v56, v60, v106
	v_cndmask_b32_e64 v58, -v66, v66, s1
	v_cndmask_b32_e64 v60, -v68, v68, s1
	ds_bpermute_b32 v66, v37, v70
	ds_bpermute_b32 v68, v37, v72
	v_add_f32_e32 v55, v57, v105
	v_cndmask_b32_e64 v57, -v65, v65, s1
	v_cndmask_b32_e64 v59, -v67, v67, s1
	;; [unrolled: 1-line block ×3, first 2 shown]
	ds_bpermute_b32 v67, v37, v71
	ds_bpermute_b32 v69, v37, v73
	s_waitcnt lgkmcnt(10)
	v_dual_add_f32 v105, v58, v62 :: v_dual_add_f32 v58, v60, v64
	v_cndmask_b32_e64 v60, -v70, v70, s1
	ds_bpermute_b32 v70, v37, v76
	s_waitcnt lgkmcnt(9)
	v_dual_add_f32 v104, v57, v61 :: v_dual_add_f32 v57, v59, v63
	s_waitcnt lgkmcnt(8)
	v_add_f32_e32 v59, v65, v107
	v_cndmask_b32_e64 v61, -v71, v71, s1
	v_cndmask_b32_e64 v62, -v72, v72, s1
	ds_bpermute_b32 v65, v37, v75
	ds_bpermute_b32 v71, v37, v77
	;; [unrolled: 1-line block ×3, first 2 shown]
	v_cndmask_b32_e64 v63, -v73, v73, s1
	v_cndmask_b32_e64 v64, -v74, v74, s1
	ds_bpermute_b32 v73, v37, v79
	s_waitcnt lgkmcnt(8)
	v_add_f32_e32 v106, v60, v66
	s_waitcnt lgkmcnt(7)
	v_add_f32_e32 v60, v62, v68
	ds_bpermute_b32 v74, v37, v81
	v_add_f32_e32 v62, v64, v108
	v_cndmask_b32_e64 v64, -v76, v76, s1
	ds_bpermute_b32 v76, v37, v83
	s_waitcnt lgkmcnt(8)
	v_add_f32_e32 v107, v61, v67
	v_cndmask_b32_e64 v66, -v77, v77, s1
	v_cndmask_b32_e64 v67, -v78, v78, s1
	ds_bpermute_b32 v77, v37, v84
	s_waitcnt lgkmcnt(7)
	v_add_f32_e32 v109, v64, v70
	v_cndmask_b32_e64 v70, -v83, v83, s1
	ds_bpermute_b32 v83, v37, v86
	v_add_f32_e32 v61, v63, v69
	v_cndmask_b32_e64 v63, -v75, v75, s1
	ds_bpermute_b32 v69, v37, v80
	ds_bpermute_b32 v75, v37, v82
	v_cndmask_b32_e64 v68, -v79, v79, s1
	s_waitcnt lgkmcnt(7)
	v_add_f32_e32 v64, v67, v72
	v_dual_add_f32 v108, v63, v65 :: v_dual_add_f32 v63, v66, v71
	v_cndmask_b32_e64 v66, -v80, v80, s1
	ds_bpermute_b32 v72, v37, v175
	ds_bpermute_b32 v78, v37, v177
	;; [unrolled: 1-line block ×3, first 2 shown]
	s_waitcnt lgkmcnt(9)
	v_add_f32_e32 v65, v68, v73
	v_cndmask_b32_e64 v67, -v81, v81, s1
	ds_bpermute_b32 v73, v37, v176
	ds_bpermute_b32 v79, v37, v178
	v_cndmask_b32_e64 v68, -v82, v82, s1
	v_cndmask_b32_e64 v71, -v84, v84, s1
	s_waitcnt lgkmcnt(10)
	v_add_f32_e32 v111, v67, v74
	s_waitcnt lgkmcnt(9)
	v_add_f32_e32 v67, v70, v76
	ds_bpermute_b32 v76, v37, v180
	ds_bpermute_b32 v81, v37, v182
	s_waitcnt lgkmcnt(8)
	v_add_f32_e32 v110, v66, v69
	s_waitcnt lgkmcnt(7)
	v_add_f32_e32 v66, v68, v75
	v_add_f32_e32 v68, v71, v77
	v_cndmask_b32_e64 v69, -v175, v175, s1
	v_cndmask_b32_e64 v71, -v177, v177, s1
	;; [unrolled: 1-line block ×3, first 2 shown]
	ds_bpermute_b32 v77, v37, v181
	ds_bpermute_b32 v82, v37, v85
	v_cndmask_b32_e64 v70, -v176, v176, s1
	v_cndmask_b32_e64 v74, -v178, v178, s1
	s_waitcnt lgkmcnt(7)
	v_dual_add_f32 v112, v69, v72 :: v_dual_add_f32 v69, v71, v78
	s_waitcnt lgkmcnt(6)
	v_add_f32_e32 v71, v75, v80
	v_cndmask_b32_e64 v75, -v85, v85, s1
	ds_bpermute_b32 v80, v37, v88
	ds_bpermute_b32 v85, v37, v184
	s_waitcnt lgkmcnt(7)
	v_add_f32_e32 v113, v70, v73
	s_waitcnt lgkmcnt(6)
	v_add_f32_e32 v70, v74, v79
	v_cndmask_b32_e64 v72, -v180, v180, s1
	v_cndmask_b32_e64 v74, -v182, v182, s1
	;; [unrolled: 1-line block ×3, first 2 shown]
	ds_bpermute_b32 v79, v37, v87
	ds_bpermute_b32 v84, v37, v183
	;; [unrolled: 1-line block ×3, first 2 shown]
	v_cndmask_b32_e64 v73, -v181, v181, s1
	s_waitcnt lgkmcnt(8)
	v_add_f32_e32 v114, v72, v76
	s_waitcnt lgkmcnt(7)
	v_add_f32_e32 v72, v74, v81
	v_add_f32_e32 v74, v78, v83
	v_cndmask_b32_e64 v76, -v88, v88, s1
	ds_bpermute_b32 v83, v37, v187
	ds_bpermute_b32 v88, v37, v189
	;; [unrolled: 1-line block ×4, first 2 shown]
	s_waitcnt lgkmcnt(0)
	s_barrier
	buffer_gl0_inv
	ds_load_b128 v[130:133], v96
	ds_load_b128 v[134:137], v96 offset:4096
	ds_load_b128 v[20:23], v96 offset:8192
	;; [unrolled: 1-line block ×3, first 2 shown]
	v_cndmask_b32_e64 v78, -v184, v184, s1
	ds_bpermute_b32 v129, v37, v200
	ds_bpermute_b32 v139, v37, v202
	v_add_f32_e32 v115, v73, v77
	v_add_f32_e32 v73, v75, v82
	v_cndmask_b32_e64 v75, -v87, v87, s1
	ds_bpermute_b32 v82, v37, v186
	ds_bpermute_b32 v87, v37, v188
	v_cndmask_b32_e64 v77, -v183, v183, s1
	v_cndmask_b32_e64 v81, -v185, v185, s1
	ds_bpermute_b32 v122, v37, v193
	ds_bpermute_b32 v125, v37, v195
	v_cndmask_b32_e64 v30, -v30, v30, s1
	v_dual_add_f32 v117, v76, v80 :: v_dual_add_f32 v76, v78, v85
	ds_bpermute_b32 v85, v37, v191
	v_add_f32_e32 v116, v75, v79
	v_add_f32_e32 v30, v30, v142
	v_cndmask_b32_e64 v79, -v187, v187, s1
	ds_bpermute_b32 v126, v37, v197
	ds_bpermute_b32 v128, v37, v199
	;; [unrolled: 1-line block ×3, first 2 shown]
	v_cndmask_b32_e64 v28, -v28, v28, s1
	v_cndmask_b32_e64 v29, -v29, v29, s1
	ds_bpermute_b32 v145, v37, v27
	v_cndmask_b32_e64 v27, -v27, v27, s1
	v_add_f32_e32 v75, v77, v84
	v_add_f32_e32 v77, v81, v86
	v_cndmask_b32_e64 v81, -v189, v189, s1
	ds_bpermute_b32 v86, v37, v192
	v_cndmask_b32_e64 v78, -v186, v186, s1
	v_cndmask_b32_e64 v80, -v188, v188, s1
	ds_bpermute_b32 v138, v37, v201
	v_add_f32_e32 v29, v29, v141
	s_waitcnt lgkmcnt(15)
	ds_bpermute_b32 v141, v37, v136
	v_add_f32_e32 v119, v79, v83
	ds_bpermute_b32 v142, v37, v137
	v_add_f32_e32 v79, v81, v88
	ds_bpermute_b32 v88, v37, v196
	v_cndmask_b32_e64 v84, -v190, v190, s1
	s_waitcnt lgkmcnt(13)
	v_add_f32_e32 v118, v78, v82
	s_waitcnt lgkmcnt(12)
	v_add_f32_e32 v78, v80, v87
	v_cndmask_b32_e64 v81, -v191, v191, s1
	v_cndmask_b32_e64 v83, -v193, v193, s1
	;; [unrolled: 1-line block ×3, first 2 shown]
	v_add_f32_e32 v80, v84, v120
	v_cndmask_b32_e64 v82, -v192, v192, s1
	v_cndmask_b32_e64 v84, -v194, v194, s1
	s_waitcnt lgkmcnt(9)
	v_dual_add_f32 v120, v81, v85 :: v_dual_add_f32 v81, v83, v122
	v_add_f32_e32 v83, v87, v125
	v_cndmask_b32_e64 v85, -v197, v197, s1
	v_cndmask_b32_e64 v87, -v199, v199, s1
	;; [unrolled: 1-line block ×3, first 2 shown]
	ds_bpermute_b32 v143, v37, v25
	ds_bpermute_b32 v144, v37, v26
	v_cndmask_b32_e64 v25, -v25, v25, s1
	s_waitcnt lgkmcnt(6)
	v_dual_add_f32 v121, v82, v86 :: v_dual_add_f32 v82, v84, v123
	v_cndmask_b32_e64 v84, -v196, v196, s1
	v_cndmask_b32_e64 v86, -v198, v198, s1
	v_add_f32_e32 v123, v85, v126
	v_add_f32_e32 v85, v87, v128
	v_cndmask_b32_e64 v87, -v201, v201, s1
	ds_bpermute_b32 v128, v37, v24
	s_waitcnt lgkmcnt(3)
	v_add_f32_e32 v122, v84, v88
	v_add_f32_e32 v84, v86, v127
	;; [unrolled: 1-line block ×3, first 2 shown]
	ds_bpermute_b32 v127, v37, v31
	v_add_f32_e32 v125, v87, v138
	ds_bpermute_b32 v87, v37, v130
	ds_bpermute_b32 v138, v37, v132
	v_cndmask_b32_e64 v24, -v24, v24, s1
	v_cndmask_b32_e64 v26, -v26, v26, s1
	;; [unrolled: 1-line block ×4, first 2 shown]
	ds_load_b128 v[16:19], v96 offset:16384
	ds_load_b128 v[8:11], v96 offset:20480
	;; [unrolled: 1-line block ×4, first 2 shown]
	v_add_f32_e32 v28, v28, v140
	ds_bpermute_b32 v140, v37, v134
	v_add_f32_e32 v126, v88, v139
	ds_bpermute_b32 v88, v37, v131
	ds_bpermute_b32 v139, v37, v133
	s_waitcnt lgkmcnt(0)
	s_barrier
	v_dual_add_f32 v129, v24, v128 :: v_dual_add_f32 v24, v25, v143
	v_dual_add_f32 v25, v26, v144 :: v_dual_add_f32 v26, v27, v145
	v_cndmask_b32_e64 v27, -v130, v130, s1
	v_cndmask_b32_e64 v128, -v132, v132, s1
	v_add_f32_e32 v127, v31, v127
	v_cndmask_b32_e64 v31, -v131, v131, s1
	v_cndmask_b32_e64 v132, -v134, v134, s1
	v_add_f32_e32 v131, v27, v87
	v_add_f32_e32 v27, v128, v138
	v_cndmask_b32_e64 v128, -v136, v136, s1
	ds_bpermute_b32 v136, v37, v22
	v_cndmask_b32_e64 v22, -v22, v22, s1
	ds_bpermute_b32 v134, v37, v135
	ds_bpermute_b32 v143, v37, v20
	;; [unrolled: 1-line block ×3, first 2 shown]
	v_cndmask_b32_e64 v130, -v133, v133, s1
	v_add_f32_e32 v87, v132, v140
	v_cndmask_b32_e64 v132, -v20, v20, s1
	ds_bpermute_b32 v138, v37, v12
	v_add_f32_e32 v148, v128, v141
	ds_bpermute_b32 v128, v37, v15
	v_cndmask_b32_e64 v12, -v12, v12, s1
	v_cndmask_b32_e64 v15, -v15, v15, s1
	ds_bpermute_b32 v140, v37, v14
	v_cndmask_b32_e64 v14, -v14, v14, s1
	s_waitcnt lgkmcnt(0)
	buffer_gl0_inv
	v_add_f32_e32 v149, v22, v136
	ds_bpermute_b32 v22, v37, v8
	v_cndmask_b32_e64 v8, -v8, v8, s1
	ds_bpermute_b32 v136, v37, v10
	v_cndmask_b32_e64 v10, -v10, v10, s1
	v_add_f32_e32 v12, v12, v138
	ds_bpermute_b32 v138, v37, v4
	v_add_f32_e32 v151, v15, v128
	ds_bpermute_b32 v128, v37, v6
	v_cndmask_b32_e64 v6, -v6, v6, s1
	s_waitcnt lgkmcnt(3)
	v_dual_add_f32 v14, v14, v140 :: v_dual_add_f32 v153, v8, v22
	ds_bpermute_b32 v22, v37, v2
	v_cndmask_b32_e64 v2, -v2, v2, s1
	v_add_f32_e32 v133, v31, v88
	v_add_f32_e32 v31, v130, v139
	v_cndmask_b32_e64 v88, -v135, v135, s1
	v_cndmask_b32_e64 v130, -v137, v137, s1
	;; [unrolled: 1-line block ×3, first 2 shown]
	ds_bpermute_b32 v137, v37, v23
	v_add_f32_e32 v21, v132, v143
	ds_bpermute_b32 v132, v37, v17
	v_add_f32_e32 v20, v130, v142
	ds_bpermute_b32 v130, v37, v16
	v_cndmask_b32_e64 v23, -v23, v23, s1
	v_cndmask_b32_e64 v16, -v16, v16, s1
	;; [unrolled: 1-line block ×3, first 2 shown]
	ds_bpermute_b32 v139, v37, v13
	s_waitcnt lgkmcnt(5)
	v_add_f32_e32 v155, v6, v128
	v_cndmask_b32_e64 v6, -v32, v32, s18
	v_cndmask_b32_e64 v13, -v13, v13, s1
	s_waitcnt lgkmcnt(4)
	v_add_f32_e32 v156, v2, v22
	v_cndmask_b32_e64 v22, -v35, v35, s18
	v_dual_add_f32 v147, v88, v134 :: v_dual_add_f32 v88, v135, v144
	ds_bpermute_b32 v134, v37, v18
	ds_bpermute_b32 v135, v37, v19
	v_cndmask_b32_e64 v18, -v18, v18, s1
	s_waitcnt lgkmcnt(5)
	v_add_f32_e32 v150, v23, v137
	v_cndmask_b32_e64 v19, -v19, v19, s1
	ds_bpermute_b32 v23, v37, v9
	ds_bpermute_b32 v137, v37, v11
	s_waitcnt lgkmcnt(5)
	v_dual_add_f32 v152, v16, v130 :: v_dual_add_f32 v15, v17, v132
	ds_bpermute_b32 v130, v37, v7
	v_cndmask_b32_e64 v9, -v9, v9, s1
	ds_bpermute_b32 v132, v37, v0
	v_cndmask_b32_e64 v11, -v11, v11, s1
	s_waitcnt lgkmcnt(4)
	v_dual_add_f32 v16, v18, v134 :: v_dual_add_f32 v17, v19, v135
	ds_bpermute_b32 v19, v37, v5
	ds_bpermute_b32 v134, v37, v1
	v_cndmask_b32_e64 v18, -v4, v4, s1
	s_waitcnt lgkmcnt(5)
	v_add_f32_e32 v154, v9, v23
	v_add_f32_e32 v4, v10, v136
	v_cndmask_b32_e64 v5, -v5, v5, s1
	v_cndmask_b32_e64 v10, -v7, v7, s1
	v_add_f32_e32 v9, v18, v138
	v_cndmask_b32_e64 v18, -v1, v1, s1
	ds_bpermute_b32 v23, v37, v3
	ds_bpermute_b32 v37, v38, v32
	;; [unrolled: 1-line block ×4, first 2 shown]
	s_waitcnt lgkmcnt(8)
	v_add_f32_e32 v8, v11, v137
	v_cndmask_b32_e64 v11, -v0, v0, s1
	s_waitcnt lgkmcnt(7)
	v_add_f32_e32 v0, v10, v130
	v_cndmask_b32_e64 v10, -v89, v89, s18
	ds_bpermute_b32 v32, v38, v35
	ds_bpermute_b32 v89, v38, v91
	s_waitcnt lgkmcnt(8)
	v_add_f32_e32 v1, v11, v132
	s_waitcnt lgkmcnt(7)
	v_add_f32_e32 v7, v5, v19
	;; [unrolled: 2-line block ×3, first 2 shown]
	ds_bpermute_b32 v18, v38, v33
	ds_bpermute_b32 v19, v38, v34
	v_cndmask_b32_e64 v3, -v3, v3, s1
	v_cndmask_b32_e64 v11, -v90, v90, s18
	ds_bpermute_b32 v90, v38, v92
	ds_bpermute_b32 v35, v38, v39
	s_mul_i32 s1, s26, s28
	s_waitcnt lgkmcnt(8)
	v_dual_add_f32 v157, v3, v23 :: v_dual_add_f32 v2, v6, v37
	s_waitcnt lgkmcnt(6)
	v_dual_add_f32 v3, v10, v135 :: v_dual_add_f32 v6, v11, v136
	v_cndmask_b32_e64 v10, -v33, v33, s18
	v_cndmask_b32_e64 v11, -v34, v34, s18
	v_cndmask_b32_e64 v23, -v91, v91, s18
	v_cndmask_b32_e64 v33, -v92, v92, s18
	ds_bpermute_b32 v34, v38, v36
	ds_bpermute_b32 v37, v38, v40
	;; [unrolled: 1-line block ×4, first 2 shown]
	s_waitcnt lgkmcnt(6)
	v_dual_add_f32 v158, v10, v18 :: v_dual_add_f32 v159, v11, v19
	v_dual_add_f32 v10, v22, v32 :: v_dual_add_f32 v11, v23, v89
	v_cndmask_b32_e64 v19, -v36, v36, s18
	v_cndmask_b32_e64 v32, -v93, v93, s18
	ds_bpermute_b32 v36, v38, v41
	ds_bpermute_b32 v89, v38, v43
	;; [unrolled: 1-line block ×3, first 2 shown]
	s_waitcnt lgkmcnt(8)
	v_add_f32_e32 v18, v33, v90
	v_cndmask_b32_e64 v22, -v39, v39, s18
	v_cndmask_b32_e64 v23, -v40, v40, s18
	;; [unrolled: 1-line block ×3, first 2 shown]
	ds_bpermute_b32 v39, v38, v42
	ds_bpermute_b32 v90, v38, v95
	s_waitcnt lgkmcnt(8)
	v_add_f32_e32 v40, v19, v34
	s_waitcnt lgkmcnt(7)
	v_dual_add_f32 v160, v22, v35 :: v_dual_add_f32 v19, v23, v37
	s_waitcnt lgkmcnt(5)
	v_dual_add_f32 v22, v32, v91 :: v_dual_add_f32 v23, v33, v92
	v_cndmask_b32_e64 v32, -v41, v41, s18
	v_cndmask_b32_e64 v34, -v43, v43, s18
	;; [unrolled: 1-line block ×4, first 2 shown]
	ds_bpermute_b32 v43, v38, v44
	ds_bpermute_b32 v91, v38, v45
	;; [unrolled: 1-line block ×5, first 2 shown]
	v_add_f32_e32 v13, v13, v139
	s_waitcnt lgkmcnt(8)
	v_dual_add_f32 v41, v32, v36 :: v_dual_add_f32 v32, v34, v89
	s_waitcnt lgkmcnt(7)
	v_add_f32_e32 v34, v37, v93
	v_cndmask_b32_e64 v36, -v45, v45, s18
	ds_bpermute_b32 v45, v38, v47
	ds_bpermute_b32 v93, v38, v101
	v_cndmask_b32_e64 v33, -v42, v42, s18
	v_cndmask_b32_e64 v37, -v46, v46, s18
	ds_bpermute_b32 v46, v38, v49
	ds_bpermute_b32 v89, v38, v50
	;; [unrolled: 1-line block ×3, first 2 shown]
	s_waitcnt lgkmcnt(10)
	v_dual_add_f32 v42, v33, v39 :: v_dual_add_f32 v33, v35, v90
	v_cndmask_b32_e64 v35, -v44, v44, s18
	v_cndmask_b32_e64 v39, -v98, v98, s18
	;; [unrolled: 1-line block ×3, first 2 shown]
	ds_bpermute_b32 v90, v38, v100
	s_waitcnt lgkmcnt(9)
	v_add_f32_e32 v161, v36, v91
	v_add_f32_e32 v43, v35, v43
	s_waitcnt lgkmcnt(7)
	v_dual_add_f32 v35, v37, v92 :: v_dual_add_f32 v36, v39, v94
	s_waitcnt lgkmcnt(6)
	v_add_f32_e32 v37, v44, v95
	v_cndmask_b32_e64 v39, -v47, v47, s18
	v_cndmask_b32_e64 v47, -v50, v50, s18
	;; [unrolled: 1-line block ×3, first 2 shown]
	ds_bpermute_b32 v91, v38, v51
	ds_bpermute_b32 v92, v38, v52
	;; [unrolled: 1-line block ×4, first 2 shown]
	s_waitcnt lgkmcnt(9)
	v_add_f32_e32 v162, v39, v45
	s_waitcnt lgkmcnt(8)
	v_add_f32_e32 v45, v50, v93
	ds_bpermute_b32 v93, v38, v104
	v_cndmask_b32_e64 v44, -v49, v49, s18
	v_cndmask_b32_e64 v49, -v100, v100, s18
	s_waitcnt lgkmcnt(7)
	v_add_f32_e32 v39, v47, v89
	v_cndmask_b32_e64 v47, -v52, v52, s18
	v_cndmask_b32_e64 v50, -v102, v102, s18
	v_add_f32_e32 v163, v44, v46
	s_waitcnt lgkmcnt(5)
	v_add_f32_e32 v44, v49, v90
	v_cndmask_b32_e64 v46, -v51, v51, s18
	v_cndmask_b32_e64 v49, -v53, v53, s18
	ds_bpermute_b32 v90, v38, v56
	v_cndmask_b32_e64 v51, -v103, v103, s18
	ds_bpermute_b32 v52, v38, v54
	ds_bpermute_b32 v98, v38, v105
	s_waitcnt lgkmcnt(6)
	v_dual_add_f32 v164, v46, v91 :: v_dual_add_f32 v165, v47, v92
	s_waitcnt lgkmcnt(4)
	v_dual_add_f32 v46, v49, v94 :: v_dual_add_f32 v47, v50, v95
	v_cndmask_b32_e64 v49, -v54, v54, s18
	v_cndmask_b32_e64 v54, -v104, v104, s18
	ds_bpermute_b32 v95, v38, v59
	v_add_f32_e32 v89, v51, v97
	v_cndmask_b32_e64 v51, -v56, v56, s18
	ds_bpermute_b32 v56, v38, v57
	s_waitcnt lgkmcnt(5)
	v_add_f32_e32 v91, v54, v93
	ds_bpermute_b32 v93, v38, v62
	ds_bpermute_b32 v53, v38, v55
	v_cndmask_b32_e64 v50, -v55, v55, s18
	v_cndmask_b32_e64 v55, -v105, v105, s18
	ds_bpermute_b32 v97, v38, v106
	s_waitcnt lgkmcnt(7)
	v_add_f32_e32 v90, v51, v90
	v_cndmask_b32_e64 v51, -v59, v59, s18
	s_waitcnt lgkmcnt(6)
	v_add_f32_e32 v166, v49, v52
	v_cndmask_b32_e64 v49, -v57, v57, s18
	ds_bpermute_b32 v54, v38, v60
	ds_bpermute_b32 v94, v38, v58
	s_waitcnt lgkmcnt(7)
	v_add_f32_e32 v92, v55, v98
	ds_bpermute_b32 v98, v38, v108
	v_cndmask_b32_e64 v52, -v106, v106, s18
	ds_bpermute_b32 v55, v38, v61
	s_waitcnt lgkmcnt(8)
	v_add_f32_e32 v57, v51, v95
	v_cndmask_b32_e64 v51, -v62, v62, s18
	ds_bpermute_b32 v95, v38, v65
	s_waitcnt lgkmcnt(8)
	v_add_f32_e32 v168, v49, v56
	;; [unrolled: 4-line block ×3, first 2 shown]
	ds_bpermute_b32 v93, v38, v68
	v_cndmask_b32_e64 v51, -v65, v65, s18
	s_waitcnt lgkmcnt(8)
	v_add_f32_e32 v167, v50, v53
	v_cndmask_b32_e64 v50, -v58, v58, s18
	s_waitcnt lgkmcnt(7)
	v_add_f32_e32 v58, v52, v97
	v_cndmask_b32_e64 v52, -v108, v108, s18
	ds_bpermute_b32 v97, v38, v110
	s_waitcnt lgkmcnt(7)
	v_add_f32_e32 v170, v49, v54
	v_cndmask_b32_e64 v49, -v63, v63, s18
	ds_bpermute_b32 v54, v38, v66
	ds_bpermute_b32 v99, v38, v107
	s_waitcnt lgkmcnt(8)
	v_add_f32_e32 v169, v50, v94
	v_cndmask_b32_e64 v50, -v61, v61, s18
	ds_bpermute_b32 v94, v38, v64
	s_waitcnt lgkmcnt(8)
	v_add_f32_e32 v61, v52, v98
	s_waitcnt lgkmcnt(6)
	v_add_f32_e32 v63, v51, v95
	v_cndmask_b32_e64 v51, -v68, v68, s18
	ds_bpermute_b32 v95, v38, v71
	ds_bpermute_b32 v98, v38, v112
	s_waitcnt lgkmcnt(7)
	v_add_f32_e32 v172, v49, v56
	v_cndmask_b32_e64 v49, -v66, v66, s18
	ds_bpermute_b32 v56, v38, v69
	s_waitcnt lgkmcnt(7)
	v_add_f32_e32 v66, v51, v93
	ds_bpermute_b32 v93, v38, v74
	ds_bpermute_b32 v100, v38, v109
	v_cndmask_b32_e64 v52, -v110, v110, s18
	v_cndmask_b32_e64 v51, -v71, v71, s18
	;; [unrolled: 1-line block ×3, first 2 shown]
	v_add_f32_e32 v171, v50, v55
	v_cndmask_b32_e64 v50, -v64, v64, s18
	s_waitcnt lgkmcnt(8)
	v_add_f32_e32 v64, v52, v97
	v_cndmask_b32_e64 v52, -v112, v112, s18
	s_waitcnt lgkmcnt(7)
	v_add_f32_e32 v112, v49, v54
	v_cndmask_b32_e64 v49, -v69, v69, s18
	ds_bpermute_b32 v55, v38, v67
	s_waitcnt lgkmcnt(6)
	v_add_f32_e32 v173, v50, v94
	v_cndmask_b32_e64 v50, -v67, v67, s18
	s_waitcnt lgkmcnt(5)
	v_add_f32_e32 v69, v51, v95
	v_cndmask_b32_e64 v51, -v74, v74, s18
	ds_bpermute_b32 v97, v38, v114
	s_waitcnt lgkmcnt(5)
	v_add_f32_e32 v67, v52, v98
	v_cndmask_b32_e64 v52, -v114, v114, s18
	ds_bpermute_b32 v54, v38, v72
	s_waitcnt lgkmcnt(5)
	v_add_f32_e32 v114, v49, v56
	v_cndmask_b32_e64 v49, -v72, v72, s18
	s_waitcnt lgkmcnt(4)
	v_add_f32_e32 v72, v51, v93
	ds_bpermute_b32 v93, v38, v80
	v_add_f32_e32 v59, v53, v99
	v_cndmask_b32_e64 v53, -v109, v109, s18
	ds_bpermute_b32 v99, v38, v111
	ds_bpermute_b32 v94, v38, v70
	;; [unrolled: 1-line block ×4, first 2 shown]
	s_waitcnt lgkmcnt(8)
	v_add_f32_e32 v62, v53, v100
	ds_bpermute_b32 v100, v38, v113
	v_cndmask_b32_e64 v53, -v111, v111, s18
	ds_bpermute_b32 v95, v38, v77
	v_cndmask_b32_e64 v51, -v77, v77, s18
	ds_bpermute_b32 v101, v38, v148
	s_waitcnt lgkmcnt(6)
	v_add_f32_e32 v65, v53, v99
	v_cndmask_b32_e64 v53, -v113, v113, s18
	ds_bpermute_b32 v99, v38, v115
	v_add_f32_e32 v113, v50, v55
	v_cndmask_b32_e64 v50, -v70, v70, s18
	ds_bpermute_b32 v55, v38, v73
	s_waitcnt lgkmcnt(4)
	v_add_f32_e32 v68, v53, v100
	v_cndmask_b32_e64 v53, -v115, v115, s18
	ds_bpermute_b32 v100, v38, v117
	v_dual_add_f32 v115, v50, v94 :: v_dual_add_f32 v70, v52, v97
	v_cndmask_b32_e64 v52, -v116, v116, s18
	ds_bpermute_b32 v94, v38, v76
	ds_bpermute_b32 v97, v38, v118
	v_cndmask_b32_e64 v50, -v73, v73, s18
	v_add_f32_e32 v116, v49, v54
	v_add_f32_e32 v73, v52, v98
	ds_bpermute_b32 v98, v38, v120
	v_cndmask_b32_e64 v52, -v118, v118, s18
	ds_bpermute_b32 v54, v38, v78
	v_cndmask_b32_e64 v49, -v75, v75, s18
	s_waitcnt lgkmcnt(8)
	v_add_f32_e32 v75, v51, v95
	s_waitcnt lgkmcnt(6)
	v_add_f32_e32 v71, v53, v99
	v_cndmask_b32_e64 v53, -v117, v117, s18
	ds_bpermute_b32 v99, v38, v119
	s_waitcnt lgkmcnt(6)
	v_add_f32_e32 v117, v50, v55
	v_cndmask_b32_e64 v50, -v76, v76, s18
	ds_bpermute_b32 v55, v38, v79
	s_waitcnt lgkmcnt(6)
	v_add_f32_e32 v74, v53, v100
	v_cndmask_b32_e64 v53, -v119, v119, s18
	ds_bpermute_b32 v100, v38, v121
	s_waitcnt lgkmcnt(6)
	v_dual_add_f32 v118, v49, v56 :: v_dual_add_f32 v119, v50, v94
	s_waitcnt lgkmcnt(5)
	v_add_f32_e32 v76, v52, v97
	v_cndmask_b32_e64 v52, -v120, v120, s18
	ds_bpermute_b32 v94, v38, v82
	ds_bpermute_b32 v97, v38, v122
	v_cndmask_b32_e64 v50, -v79, v79, s18
	v_cndmask_b32_e64 v49, -v78, v78, s18
	s_waitcnt lgkmcnt(6)
	v_add_f32_e32 v79, v52, v98
	ds_bpermute_b32 v98, v38, v125
	ds_bpermute_b32 v56, v38, v81
	v_cndmask_b32_e64 v52, -v122, v122, s18
	s_waitcnt lgkmcnt(7)
	v_add_f32_e32 v120, v49, v54
	s_waitcnt lgkmcnt(6)
	v_add_f32_e32 v77, v53, v99
	v_cndmask_b32_e64 v53, -v121, v121, s18
	ds_bpermute_b32 v54, v38, v84
	s_waitcnt lgkmcnt(6)
	v_add_f32_e32 v121, v50, v55
	v_cndmask_b32_e64 v50, -v82, v82, s18
	v_cndmask_b32_e64 v51, -v80, v80, s18
	ds_bpermute_b32 v95, v38, v83
	ds_bpermute_b32 v99, v38, v123
	s_waitcnt lgkmcnt(7)
	v_add_f32_e32 v80, v53, v100
	v_cndmask_b32_e64 v53, -v123, v123, s18
	ds_bpermute_b32 v55, v38, v85
	s_waitcnt lgkmcnt(6)
	v_dual_add_f32 v123, v50, v94 :: v_dual_add_f32 v82, v52, v97
	v_cndmask_b32_e64 v52, -v125, v125, s18
	ds_bpermute_b32 v94, v38, v29
	ds_bpermute_b32 v97, v38, v127
	v_cndmask_b32_e64 v49, -v81, v81, s18
	v_cndmask_b32_e64 v50, -v85, v85, s18
	s_waitcnt lgkmcnt(7)
	v_add_f32_e32 v85, v52, v98
	ds_bpermute_b32 v52, v38, v25
	v_add_f32_e32 v78, v51, v93
	s_waitcnt lgkmcnt(7)
	v_add_f32_e32 v122, v49, v56
	v_cndmask_b32_e64 v49, -v84, v84, s18
	ds_bpermute_b32 v56, v38, v28
	v_cndmask_b32_e64 v51, -v83, v83, s18
	ds_bpermute_b32 v100, v38, v126
	v_cndmask_b32_e64 v29, -v29, v29, s18
	s_waitcnt lgkmcnt(8)
	v_add_f32_e32 v125, v49, v54
	v_cndmask_b32_e64 v49, -v127, v127, s18
	ds_bpermute_b32 v54, v38, v131
	ds_bpermute_b32 v93, v38, v86
	s_waitcnt lgkmcnt(9)
	v_add_f32_e32 v81, v51, v95
	s_waitcnt lgkmcnt(8)
	v_add_f32_e32 v83, v53, v99
	v_cndmask_b32_e64 v53, -v126, v126, s18
	ds_bpermute_b32 v95, v38, v30
	ds_bpermute_b32 v99, v38, v129
	s_waitcnt lgkmcnt(9)
	v_add_f32_e32 v126, v50, v55
	v_cndmask_b32_e64 v50, -v129, v129, s18
	ds_bpermute_b32 v55, v38, v133
	s_waitcnt lgkmcnt(9)
	v_add_f32_e32 v129, v29, v94
	s_waitcnt lgkmcnt(8)
	v_add_f32_e32 v94, v49, v97
	v_cndmask_b32_e64 v25, -v25, v25, s18
	ds_bpermute_b32 v49, v38, v31
	v_cndmask_b32_e64 v28, -v28, v28, s18
	v_cndmask_b32_e64 v29, -v133, v133, s18
	;; [unrolled: 1-line block ×3, first 2 shown]
	s_waitcnt lgkmcnt(8)
	v_add_f32_e32 v133, v25, v52
	ds_bpermute_b32 v52, v38, v149
	s_waitcnt lgkmcnt(8)
	v_add_f32_e32 v127, v28, v56
	v_cndmask_b32_e64 v28, -v131, v131, s18
	s_waitcnt lgkmcnt(7)
	v_add_f32_e32 v86, v53, v100
	v_cndmask_b32_e64 v30, -v30, v30, s18
	ds_bpermute_b32 v53, v38, v26
	v_cndmask_b32_e64 v25, -v31, v31, s18
	s_waitcnt lgkmcnt(7)
	v_add_f32_e32 v98, v28, v54
	v_cndmask_b32_e64 v28, -v148, v148, s18
	s_waitcnt lgkmcnt(5)
	v_dual_add_f32 v84, v51, v93 :: v_dual_add_f32 v93, v30, v95
	s_waitcnt lgkmcnt(4)
	v_add_f32_e32 v95, v50, v99
	ds_bpermute_b32 v50, v38, v87
	s_waitcnt lgkmcnt(4)
	v_add_f32_e32 v99, v29, v55
	ds_bpermute_b32 v29, v38, v20
	ds_bpermute_b32 v31, v38, v21
	s_waitcnt lgkmcnt(5)
	v_add_f32_e32 v148, v25, v49
	v_add_f32_e32 v101, v28, v101
	v_cndmask_b32_e64 v25, -v149, v149, s18
	ds_bpermute_b32 v28, v38, v13
	ds_bpermute_b32 v49, v38, v151
	v_cndmask_b32_e64 v26, -v26, v26, s18
	v_cndmask_b32_e64 v20, -v20, v20, s18
	s_waitcnt lgkmcnt(6)
	v_add_f32_e32 v102, v25, v52
	ds_bpermute_b32 v25, v38, v16
	v_cndmask_b32_e64 v21, -v21, v21, s18
	s_waitcnt lgkmcnt(6)
	v_add_f32_e32 v97, v26, v53
	v_cndmask_b32_e64 v26, -v87, v87, s18
	v_cndmask_b32_e64 v13, -v13, v13, s18
	ds_bpermute_b32 v53, v38, v150
	ds_bpermute_b32 v51, v38, v24
	;; [unrolled: 1-line block ×3, first 2 shown]
	s_waitcnt lgkmcnt(8)
	v_add_f32_e32 v87, v26, v50
	v_cndmask_b32_e64 v26, -v150, v150, s18
	ds_bpermute_b32 v50, v38, v152
	s_waitcnt lgkmcnt(7)
	v_dual_add_f32 v149, v20, v29 :: v_dual_add_f32 v150, v21, v31
	v_cndmask_b32_e64 v20, -v151, v151, s18
	v_cndmask_b32_e64 v21, -v152, v152, s18
	s_waitcnt lgkmcnt(6)
	v_add_f32_e32 v152, v13, v28
	v_cndmask_b32_e64 v13, -v16, v16, s18
	ds_bpermute_b32 v31, v38, v154
	s_waitcnt lgkmcnt(6)
	v_add_f32_e32 v105, v20, v49
	v_cndmask_b32_e64 v16, -v154, v154, s18
	ds_bpermute_b32 v20, v38, v8
	s_waitcnt lgkmcnt(6)
	v_add_f32_e32 v154, v13, v25
	ds_bpermute_b32 v13, v38, v0
	v_cndmask_b32_e64 v24, -v24, v24, s18
	v_cndmask_b32_e64 v8, -v8, v8, s18
	;; [unrolled: 1-line block ×3, first 2 shown]
	ds_bpermute_b32 v30, v38, v27
	ds_bpermute_b32 v29, v38, v153
	;; [unrolled: 1-line block ×4, first 2 shown]
	s_waitcnt lgkmcnt(7)
	v_add_f32_e32 v106, v21, v50
	ds_bpermute_b32 v21, v38, v9
	v_cndmask_b32_e64 v9, -v9, v9, s18
	ds_bpermute_b32 v132, v48, v150
	ds_bpermute_b32 v144, v48, v154
	s_waitcnt lgkmcnt(8)
	v_add_f32_e32 v108, v8, v20
	ds_bpermute_b32 v8, v48, v2
	s_waitcnt lgkmcnt(8)
	v_add_f32_e32 v110, v0, v13
	v_cndmask_b32_e64 v0, -v2, v2, s0
	v_cndmask_b32_e64 v2, -v6, v6, s0
	v_add_f32_e32 v131, v24, v51
	v_cndmask_b32_e64 v24, -v27, v27, s18
	v_cndmask_b32_e64 v27, -v147, v147, s18
	ds_bpermute_b32 v51, v38, v88
	ds_bpermute_b32 v20, v48, v159
	v_cndmask_b32_e64 v13, -v159, v159, s0
	s_waitcnt lgkmcnt(9)
	v_dual_add_f32 v147, v24, v30 :: v_dual_add_f32 v100, v27, v56
	ds_bpermute_b32 v27, v38, v12
	v_cndmask_b32_e64 v12, -v12, v12, s18
	v_cndmask_b32_e64 v24, -v88, v88, s18
	ds_bpermute_b32 v30, v38, v14
	v_cndmask_b32_e64 v14, -v14, v14, s18
	s_waitcnt lgkmcnt(7)
	v_add_f32_e32 v54, v9, v21
	ds_bpermute_b32 v9, v48, v3
	ds_bpermute_b32 v21, v48, v40
	s_waitcnt lgkmcnt(5)
	v_add_f32_e32 v88, v24, v51
	ds_bpermute_b32 v24, v38, v15
	s_waitcnt lgkmcnt(4)
	v_add_f32_e32 v151, v12, v27
	ds_bpermute_b32 v27, v38, v7
	v_cndmask_b32_e64 v12, -v15, v15, s18
	v_cndmask_b32_e64 v15, -v153, v153, s18
	;; [unrolled: 1-line block ×3, first 2 shown]
	s_waitcnt lgkmcnt(4)
	v_add_f32_e32 v104, v14, v30
	v_cndmask_b32_e64 v14, -v17, v17, s18
	ds_bpermute_b32 v30, v48, v36
	v_add_f32_e32 v51, v15, v29
	ds_bpermute_b32 v29, v48, v35
	ds_bpermute_b32 v15, v38, v5
	s_waitcnt lgkmcnt(4)
	v_add_f32_e32 v153, v12, v24
	v_cndmask_b32_e64 v12, -v155, v155, s18
	ds_bpermute_b32 v24, v38, v157
	s_waitcnt lgkmcnt(4)
	v_add_f32_e32 v55, v7, v27
	ds_bpermute_b32 v27, v48, v161
	v_add_f32_e32 v56, v12, v28
	v_cndmask_b32_e64 v28, -v161, v161, s0
	ds_bpermute_b32 v12, v48, v6
	v_cndmask_b32_e64 v7, -v157, v157, s18
	s_waitcnt lgkmcnt(2)
	s_delay_alu instid0(VALU_DEP_1)
	v_add_f32_e32 v52, v7, v24
	ds_bpermute_b32 v24, v48, v160
	s_waitcnt lgkmcnt(2)
	v_add_f32_e32 v27, v28, v27
	ds_bpermute_b32 v28, v48, v164
	v_add_f32_e32 v103, v26, v53
	ds_bpermute_b32 v26, v38, v17
	ds_bpermute_b32 v17, v38, v4
	v_add_f32_e32 v53, v16, v31
	ds_bpermute_b32 v16, v38, v156
	v_cndmask_b32_e64 v4, -v4, v4, s18
	s_waitcnt lgkmcnt(5)
	v_add_f32_e32 v6, v2, v12
	ds_bpermute_b32 v12, v48, v23
	v_cndmask_b32_e64 v2, -v11, v11, s0
	ds_bpermute_b32 v31, v48, v37
	s_waitcnt lgkmcnt(4)
	v_add_f32_e32 v50, v14, v26
	ds_bpermute_b32 v14, v38, v1
	s_waitcnt lgkmcnt(4)
	v_add_f32_e32 v107, v4, v17
	v_cndmask_b32_e64 v4, -v5, v5, s18
	v_cndmask_b32_e64 v5, -v156, v156, s18
	ds_bpermute_b32 v17, v48, v158
	v_cndmask_b32_e64 v1, -v1, v1, s18
	s_mul_hi_u32 s18, s26, s15
	v_add_f32_e32 v109, v4, v15
	s_waitcnt lgkmcnt(4)
	v_add_f32_e32 v49, v5, v16
	ds_bpermute_b32 v15, v48, v11
	ds_bpermute_b32 v16, v48, v18
	v_add_f32_e32 v4, v0, v8
	v_add_f32_e32 v0, v13, v20
	ds_bpermute_b32 v13, v48, v41
	v_cndmask_b32_e64 v8, -v40, v40, s0
	ds_bpermute_b32 v11, v48, v22
	ds_bpermute_b32 v20, v48, v32
	s_add_i32 s1, s18, s1
	s_mul_i32 s18, s27, s15
	s_waitcnt lgkmcnt(6)
	v_dual_add_f32 v8, v8, v21 :: v_dual_add_f32 v111, v1, v14
	v_cndmask_b32_e64 v1, -v3, v3, s0
	v_cndmask_b32_e64 v3, -v158, v158, s0
	ds_bpermute_b32 v14, v48, v10
	ds_bpermute_b32 v21, v48, v33
	s_add_i32 s1, s1, s18
	v_add_f32_e32 v5, v1, v9
	s_waitcnt lgkmcnt(7)
	v_add_f32_e32 v7, v3, v17
	v_cndmask_b32_e64 v1, -v10, v10, s0
	v_cndmask_b32_e64 v3, -v18, v18, s0
	ds_bpermute_b32 v10, v48, v19
	ds_bpermute_b32 v18, v48, v42
	s_waitcnt lgkmcnt(8)
	v_add_f32_e32 v2, v2, v15
	v_cndmask_b32_e64 v15, -v22, v22, s0
	s_waitcnt lgkmcnt(7)
	v_add_f32_e32 v3, v3, v16
	v_cndmask_b32_e64 v16, -v23, v23, s0
	v_cndmask_b32_e64 v17, -v41, v41, s0
	ds_bpermute_b32 v22, v48, v34
	ds_bpermute_b32 v23, v48, v43
	v_cndmask_b32_e64 v9, -v160, v160, s0
	s_waitcnt lgkmcnt(8)
	v_dual_add_f32 v16, v16, v12 :: v_dual_add_f32 v17, v17, v13
	v_cndmask_b32_e64 v12, -v32, v32, s0
	v_cndmask_b32_e64 v13, -v33, v33, s0
	ds_bpermute_b32 v32, v48, v162
	ds_bpermute_b32 v33, v48, v163
	s_waitcnt lgkmcnt(7)
	v_add_f32_e32 v1, v1, v14
	v_cndmask_b32_e64 v14, -v19, v19, s0
	v_cndmask_b32_e64 v19, -v42, v42, s0
	v_add_f32_e32 v11, v15, v11
	v_cndmask_b32_e64 v15, -v43, v43, s0
	s_waitcnt lgkmcnt(5)
	v_dual_add_f32 v9, v9, v24 :: v_dual_add_f32 v10, v14, v10
	v_cndmask_b32_e64 v14, -v34, v34, s0
	s_waitcnt lgkmcnt(4)
	v_dual_add_f32 v18, v19, v18 :: v_dual_add_f32 v19, v12, v20
	v_add_f32_e32 v24, v13, v21
	v_cndmask_b32_e64 v12, -v35, v35, s0
	s_waitcnt lgkmcnt(2)
	v_dual_add_f32 v25, v14, v22 :: v_dual_add_f32 v26, v15, v23
	v_cndmask_b32_e64 v13, -v36, v36, s0
	v_cndmask_b32_e64 v14, -v37, v37, s0
	;; [unrolled: 1-line block ×4, first 2 shown]
	ds_bpermute_b32 v21, v48, v39
	ds_bpermute_b32 v22, v48, v44
	;; [unrolled: 1-line block ×4, first 2 shown]
	v_dual_add_f32 v40, v12, v29 :: v_dual_add_f32 v41, v13, v30
	s_waitcnt lgkmcnt(5)
	v_dual_add_f32 v42, v14, v31 :: v_dual_add_f32 v43, v15, v32
	s_waitcnt lgkmcnt(4)
	v_add_f32_e32 v36, v20, v33
	ds_bpermute_b32 v29, v48, v46
	ds_bpermute_b32 v30, v48, v47
	;; [unrolled: 1-line block ×5, first 2 shown]
	v_cndmask_b32_e64 v12, -v39, v39, s0
	v_cndmask_b32_e64 v13, -v44, v44, s0
	v_cndmask_b32_e64 v14, -v45, v45, s0
	v_cndmask_b32_e64 v15, -v164, v164, s0
	v_cndmask_b32_e64 v20, -v165, v165, s0
	ds_bpermute_b32 v35, v48, v59
	s_waitcnt lgkmcnt(8)
	v_dual_add_f32 v37, v12, v21 :: v_dual_add_f32 v38, v13, v22
	s_waitcnt lgkmcnt(7)
	v_dual_add_f32 v39, v14, v23 :: v_dual_add_f32 v134, v15, v28
	s_waitcnt lgkmcnt(6)
	v_add_f32_e32 v135, v20, v34
	v_cndmask_b32_e64 v12, -v46, v46, s0
	v_cndmask_b32_e64 v13, -v47, v47, s0
	;; [unrolled: 1-line block ×5, first 2 shown]
	ds_bpermute_b32 v21, v48, v90
	ds_bpermute_b32 v22, v48, v91
	;; [unrolled: 1-line block ×5, first 2 shown]
	s_waitcnt lgkmcnt(9)
	v_dual_add_f32 v136, v12, v29 :: v_dual_add_f32 v137, v13, v30
	s_waitcnt lgkmcnt(7)
	v_dual_add_f32 v12, v14, v31 :: v_dual_add_f32 v13, v15, v32
	s_waitcnt lgkmcnt(6)
	v_add_f32_e32 v14, v20, v33
	ds_bpermute_b32 v32, v48, v57
	ds_bpermute_b32 v33, v48, v58
	;; [unrolled: 1-line block ×4, first 2 shown]
	v_cndmask_b32_e64 v15, -v90, v90, s0
	v_cndmask_b32_e64 v20, -v91, v91, s0
	;; [unrolled: 1-line block ×6, first 2 shown]
	s_waitcnt lgkmcnt(7)
	v_dual_add_f32 v15, v15, v21 :: v_dual_add_f32 v20, v20, v22
	s_waitcnt lgkmcnt(5)
	v_dual_add_f32 v21, v29, v23 :: v_dual_add_f32 v22, v30, v28
	s_waitcnt lgkmcnt(4)
	v_add_f32_e32 v23, v31, v34
	v_cndmask_b32_e64 v28, -v57, v57, s0
	v_cndmask_b32_e64 v29, -v58, v58, s0
	;; [unrolled: 1-line block ×4, first 2 shown]
	ds_bpermute_b32 v47, v48, v60
	ds_bpermute_b32 v57, v48, v61
	;; [unrolled: 1-line block ×5, first 2 shown]
	s_waitcnt lgkmcnt(8)
	v_add_f32_e32 v32, v28, v32
	s_waitcnt lgkmcnt(6)
	v_dual_add_f32 v34, v30, v35 :: v_dual_add_f32 v35, v31, v44
	s_waitcnt lgkmcnt(5)
	v_add_f32_e32 v28, v46, v45
	v_cndmask_b32_e64 v30, -v61, v61, s0
	v_cndmask_b32_e64 v31, -v62, v62, s0
	ds_bpermute_b32 v46, v48, v63
	ds_bpermute_b32 v61, v48, v65
	;; [unrolled: 1-line block ×5, first 2 shown]
	v_add_f32_e32 v33, v29, v33
	v_cndmask_b32_e64 v29, -v60, v60, s0
	ds_bpermute_b32 v60, v48, v64
	v_cndmask_b32_e64 v44, -v172, v172, s0
	v_cndmask_b32_e64 v45, -v173, v173, s0
	s_waitcnt lgkmcnt(9)
	v_dual_add_f32 v30, v30, v57 :: v_dual_add_f32 v29, v29, v47
	s_waitcnt lgkmcnt(7)
	v_dual_add_f32 v31, v31, v58 :: v_dual_add_f32 v44, v44, v59
	v_cndmask_b32_e64 v47, -v63, v63, s0
	v_cndmask_b32_e64 v57, -v64, v64, s0
	;; [unrolled: 1-line block ×5, first 2 shown]
	ds_bpermute_b32 v64, v48, v66
	ds_bpermute_b32 v65, v48, v67
	;; [unrolled: 1-line block ×4, first 2 shown]
	s_waitcnt lgkmcnt(10)
	v_add_f32_e32 v45, v45, v89
	ds_bpermute_b32 v89, v48, v68
	s_waitcnt lgkmcnt(10)
	v_add_f32_e32 v46, v47, v46
	ds_bpermute_b32 v113, v48, v117
	s_waitcnt lgkmcnt(6)
	v_add_f32_e32 v47, v57, v60
	v_dual_add_f32 v57, v58, v61 :: v_dual_add_f32 v58, v59, v62
	v_add_f32_e32 v59, v63, v90
	v_cndmask_b32_e64 v61, -v67, v67, s0
	ds_bpermute_b32 v67, v48, v69
	ds_bpermute_b32 v90, v48, v71
	v_cndmask_b32_e64 v60, -v66, v66, s0
	v_cndmask_b32_e64 v62, -v68, v68, s0
	;; [unrolled: 1-line block ×4, first 2 shown]
	ds_bpermute_b32 v68, v48, v70
	ds_bpermute_b32 v112, v48, v116
	s_waitcnt lgkmcnt(8)
	v_dual_add_f32 v60, v60, v64 :: v_dual_add_f32 v61, v61, v65
	s_waitcnt lgkmcnt(6)
	v_dual_add_f32 v63, v63, v91 :: v_dual_add_f32 v64, v66, v92
	v_cndmask_b32_e64 v65, -v69, v69, s0
	v_cndmask_b32_e64 v69, -v71, v71, s0
	;; [unrolled: 1-line block ×3, first 2 shown]
	ds_bpermute_b32 v91, v48, v73
	ds_bpermute_b32 v92, v48, v74
	;; [unrolled: 1-line block ×4, first 2 shown]
	s_waitcnt lgkmcnt(9)
	v_add_f32_e32 v62, v62, v89
	v_cndmask_b32_e64 v66, -v70, v70, s0
	v_cndmask_b32_e64 v70, -v116, v116, s0
	ds_bpermute_b32 v89, v48, v72
	s_waitcnt lgkmcnt(8)
	v_add_f32_e32 v65, v65, v67
	s_waitcnt lgkmcnt(7)
	v_add_f32_e32 v67, v69, v90
	v_add_f32_e32 v69, v71, v113
	ds_bpermute_b32 v90, v48, v75
	ds_bpermute_b32 v113, v48, v77
	ds_bpermute_b32 v116, v48, v120
	ds_bpermute_b32 v117, v48, v121
	s_waitcnt lgkmcnt(10)
	v_add_f32_e32 v66, v66, v68
	s_waitcnt lgkmcnt(9)
	v_add_f32_e32 v68, v70, v112
	v_cndmask_b32_e64 v70, -v72, v72, s0
	v_cndmask_b32_e64 v71, -v73, v73, s0
	;; [unrolled: 1-line block ×5, first 2 shown]
	ds_bpermute_b32 v112, v48, v76
	s_waitcnt lgkmcnt(8)
	v_dual_add_f32 v71, v71, v91 :: v_dual_add_f32 v72, v72, v92
	s_waitcnt lgkmcnt(6)
	v_dual_add_f32 v73, v73, v114 :: v_dual_add_f32 v74, v74, v115
	v_cndmask_b32_e64 v75, -v75, v75, s0
	v_cndmask_b32_e64 v77, -v77, v77, s0
	;; [unrolled: 1-line block ×4, first 2 shown]
	ds_bpermute_b32 v114, v48, v78
	ds_bpermute_b32 v115, v48, v79
	;; [unrolled: 1-line block ×3, first 2 shown]
	s_waitcnt lgkmcnt(8)
	v_add_f32_e32 v70, v70, v89
	ds_bpermute_b32 v119, v48, v122
	ds_bpermute_b32 v120, v48, v123
	s_waitcnt lgkmcnt(9)
	v_add_f32_e32 v75, v75, v90
	s_waitcnt lgkmcnt(7)
	v_dual_add_f32 v89, v77, v113 :: v_dual_add_f32 v90, v91, v116
	s_waitcnt lgkmcnt(6)
	v_add_f32_e32 v91, v92, v117
	v_cndmask_b32_e64 v77, -v78, v78, s0
	v_cndmask_b32_e64 v78, -v79, v79, s0
	;; [unrolled: 1-line block ×4, first 2 shown]
	ds_bpermute_b32 v113, v48, v81
	ds_bpermute_b32 v117, v48, v83
	;; [unrolled: 1-line block ×5, first 2 shown]
	v_cndmask_b32_e64 v76, -v76, v76, s0
	s_waitcnt lgkmcnt(8)
	v_dual_add_f32 v92, v77, v114 :: v_dual_add_f32 v77, v78, v115
	s_waitcnt lgkmcnt(7)
	v_add_f32_e32 v78, v79, v118
	v_cndmask_b32_e64 v81, -v81, v81, s0
	v_add_f32_e32 v76, v76, v112
	v_cndmask_b32_e64 v112, -v123, v123, s0
	v_cndmask_b32_e64 v83, -v83, v83, s0
	;; [unrolled: 1-line block ×4, first 2 shown]
	ds_bpermute_b32 v123, v48, v86
	ds_bpermute_b32 v125, v48, v127
	;; [unrolled: 1-line block ×3, first 2 shown]
	s_waitcnt lgkmcnt(9)
	v_add_f32_e32 v79, v80, v119
	s_waitcnt lgkmcnt(8)
	v_add_f32_e32 v80, v112, v120
	v_cndmask_b32_e64 v82, -v82, v82, s0
	ds_bpermute_b32 v119, v48, v84
	ds_bpermute_b32 v120, v48, v85
	s_waitcnt lgkmcnt(9)
	v_add_f32_e32 v112, v81, v113
	s_waitcnt lgkmcnt(8)
	v_add_f32_e32 v114, v83, v117
	v_cndmask_b32_e64 v83, -v85, v85, s0
	v_cndmask_b32_e64 v85, -v127, v127, s0
	ds_bpermute_b32 v127, v48, v131
	ds_store_b128 v96, v[4:7]
	ds_store_b128 v96, v[0:3] offset:4096
	ds_store_b128 v96, v[8:11] offset:8192
	;; [unrolled: 1-line block ×7, first 2 shown]
	s_waitcnt lgkmcnt(0)
	s_barrier
	buffer_gl0_inv
	ds_load_b128 v[0:3], v124 offset:8192
	ds_load_b128 v[4:7], v124
	ds_load_b128 v[8:11], v124 offset:16384
	ds_load_b128 v[16:19], v124 offset:24576
	v_add_f32_e32 v115, v115, v121
	v_add_f32_e32 v81, v118, v122
	ds_bpermute_b32 v118, v48, v93
	ds_bpermute_b32 v121, v48, v94
	;; [unrolled: 1-line block ×3, first 2 shown]
	v_add_f32_e32 v113, v82, v116
	v_cndmask_b32_e64 v82, -v84, v84, s0
	v_cndmask_b32_e64 v84, -v86, v86, s0
	;; [unrolled: 1-line block ×3, first 2 shown]
	ds_bpermute_b32 v129, v48, v147
	v_add_f32_e32 v116, v85, v125
	v_cndmask_b32_e64 v85, -v93, v93, s0
	v_dual_add_f32 v84, v84, v123 :: v_dual_add_f32 v117, v86, v126
	v_cndmask_b32_e64 v86, -v94, v94, s0
	v_cndmask_b32_e64 v93, -v95, v95, s0
	;; [unrolled: 1-line block ×3, first 2 shown]
	s_waitcnt lgkmcnt(6)
	v_add_f32_e32 v174, v7, v3
	v_cndmask_b32_e64 v95, -v133, v133, s0
	ds_bpermute_b32 v123, v48, v97
	v_dual_add_f32 v82, v82, v119 :: v_dual_add_f32 v83, v83, v120
	v_add_f32_e32 v172, v6, v2
	ds_bpermute_b32 v126, v48, v99
	s_waitcnt lgkmcnt(4)
	v_dual_add_f32 v118, v85, v118 :: v_dual_add_f32 v119, v86, v121
	s_waitcnt lgkmcnt(3)
	v_dual_add_f32 v120, v93, v122 :: v_dual_add_f32 v121, v94, v127
	v_add_f32_e32 v122, v95, v128
	v_cndmask_b32_e64 v85, -v97, v97, s0
	v_cndmask_b32_e64 v94, -v147, v147, s0
	;; [unrolled: 1-line block ×3, first 2 shown]
	ds_bpermute_b32 v97, v48, v87
	ds_bpermute_b32 v125, v48, v98
	ds_bpermute_b32 v131, v48, v149
	s_waitcnt lgkmcnt(5)
	v_dual_add_f32 v127, v94, v129 :: v_dual_add_f32 v128, v95, v130
	v_cndmask_b32_e64 v94, -v150, v150, s0
	ds_bpermute_b32 v95, v48, v88
	v_cndmask_b32_e64 v93, -v99, v99, s0
	ds_bpermute_b32 v99, v48, v101
	v_cndmask_b32_e64 v86, -v98, v98, s0
	v_add_f32_e32 v138, v94, v132
	ds_bpermute_b32 v94, v48, v104
	ds_bpermute_b32 v98, v48, v100
	s_waitcnt lgkmcnt(8)
	v_add_f32_e32 v123, v85, v123
	v_cndmask_b32_e64 v85, -v87, v87, s0
	s_waitcnt lgkmcnt(7)
	v_add_f32_e32 v126, v93, v126
	v_cndmask_b32_e64 v87, -v101, v101, s0
	v_cndmask_b32_e64 v93, -v149, v149, s0
	ds_bpermute_b32 v101, v48, v102
	ds_bpermute_b32 v129, v48, v103
	s_waitcnt lgkmcnt(8)
	v_add_f32_e32 v97, v85, v97
	v_cndmask_b32_e64 v85, -v88, v88, s0
	ds_bpermute_b32 v130, v48, v151
	s_waitcnt lgkmcnt(8)
	v_add_f32_e32 v125, v86, v125
	v_cndmask_b32_e64 v86, -v100, v100, s0
	ds_bpermute_b32 v133, v48, v152
	s_waitcnt lgkmcnt(8)
	v_add_f32_e32 v100, v93, v131
	ds_bpermute_b32 v131, v48, v105
	s_waitcnt lgkmcnt(8)
	v_add_f32_e32 v139, v85, v95
	v_cndmask_b32_e64 v85, -v104, v104, s0
	ds_bpermute_b32 v95, v48, v50
	ds_bpermute_b32 v132, v48, v106
	;; [unrolled: 1-line block ×3, first 2 shown]
	s_waitcnt lgkmcnt(10)
	v_add_f32_e32 v99, v87, v99
	v_cndmask_b32_e64 v87, -v103, v103, s0
	s_waitcnt lgkmcnt(9)
	v_add_f32_e32 v103, v85, v94
	ds_bpermute_b32 v85, v48, v54
	s_waitcnt lgkmcnt(9)
	v_add_f32_e32 v98, v86, v98
	v_cndmask_b32_e64 v86, -v102, v102, s0
	v_cndmask_b32_e64 v88, -v151, v151, s0
	v_cndmask_b32_e64 v93, -v152, v152, s0
	v_cndmask_b32_e64 v50, -v50, v50, s0
	s_waitcnt lgkmcnt(7)
	v_add_f32_e32 v141, v87, v129
	v_add_f32_e32 v140, v86, v101
	v_cndmask_b32_e64 v86, -v105, v105, s0
	ds_bpermute_b32 v105, v48, v51
	s_waitcnt lgkmcnt(7)
	v_add_f32_e32 v101, v88, v130
	v_cndmask_b32_e64 v87, -v106, v106, s0
	v_cndmask_b32_e64 v88, -v153, v153, s0
	ds_bpermute_b32 v106, v48, v53
	s_waitcnt lgkmcnt(7)
	v_add_f32_e32 v102, v93, v133
	v_cndmask_b32_e64 v93, -v154, v154, s0
	s_waitcnt lgkmcnt(6)
	v_add_f32_e32 v104, v86, v131
	ds_bpermute_b32 v86, v48, v55
	s_waitcnt lgkmcnt(6)
	v_add_f32_e32 v145, v50, v95
	v_cndmask_b32_e64 v50, -v54, v54, s0
	s_waitcnt lgkmcnt(4)
	v_dual_add_f32 v142, v87, v132 :: v_dual_add_f32 v143, v88, v143
	ds_bpermute_b32 v87, v48, v56
	ds_bpermute_b32 v88, v48, v110
	v_add_f32_e32 v144, v93, v144
	ds_bpermute_b32 v93, v48, v111
	s_waitcnt lgkmcnt(6)
	v_add_f32_e32 v152, v50, v85
	ds_bpermute_b32 v50, v48, v109
	v_cndmask_b32_e64 v51, -v51, v51, s0
	v_cndmask_b32_e64 v53, -v53, v53, s0
	;; [unrolled: 1-line block ×3, first 2 shown]
	ds_bpermute_b32 v129, v48, v107
	ds_bpermute_b32 v130, v48, v108
	s_waitcnt lgkmcnt(8)
	v_add_f32_e32 v105, v51, v105
	v_cndmask_b32_e64 v51, -v55, v55, s0
	s_waitcnt lgkmcnt(7)
	v_add_f32_e32 v106, v53, v106
	v_cndmask_b32_e64 v53, -v56, v56, s0
	v_cndmask_b32_e64 v55, -v111, v111, s0
	;; [unrolled: 1-line block ×3, first 2 shown]
	s_waitcnt lgkmcnt(6)
	v_add_f32_e32 v153, v51, v86
	v_cndmask_b32_e64 v51, -v109, v109, s0
	v_cndmask_b32_e64 v108, -v108, v108, s0
	s_waitcnt lgkmcnt(4)
	v_dual_add_f32 v154, v53, v87 :: v_dual_add_f32 v155, v54, v88
	ds_bpermute_b32 v53, v48, v49
	ds_bpermute_b32 v54, v48, v52
	s_waitcnt lgkmcnt(5)
	v_add_f32_e32 v134, v55, v93
	s_waitcnt lgkmcnt(4)
	v_add_f32_e32 v135, v51, v50
	v_cndmask_b32_e64 v55, -v49, v49, s0
	ds_load_b128 v[36:39], v124 offset:4096
	ds_load_b128 v[48:51], v124 offset:12288
	;; [unrolled: 1-line block ×4, first 2 shown]
	v_cndmask_b32_e64 v52, -v52, v52, s0
	s_waitcnt lgkmcnt(0)
	s_barrier
	buffer_gl0_inv
	ds_store_b128 v96, v[12:15]
	ds_store_b128 v96, v[20:23] offset:4096
	ds_store_b128 v96, v[32:35] offset:8192
	;; [unrolled: 1-line block ×7, first 2 shown]
	s_waitcnt lgkmcnt(0)
	s_barrier
	buffer_gl0_inv
	v_add_f32_e32 v108, v108, v130
	v_add_f32_e32 v168, v4, v0
	;; [unrolled: 1-line block ×3, first 2 shown]
	s_mul_i32 s0, s26, s15
	s_delay_alu instid0(SALU_CYCLE_1)
	s_lshl_b64 s[0:1], s[0:1], 1
	v_dual_add_f32 v136, v55, v53 :: v_dual_add_f32 v137, v52, v54
	ds_load_b128 v[56:59], v124
	ds_load_b128 v[32:35], v124 offset:4096
	ds_load_b128 v[60:63], v124 offset:8192
	;; [unrolled: 1-line block ×7, first 2 shown]
	v_dual_add_f32 v107, v94, v129 :: v_dual_add_f32 v176, v36, v48
	v_add_f32_e32 v178, v24, v40
	v_add_f32_e32 v180, v38, v50
	s_waitcnt lgkmcnt(0)
	s_barrier
	buffer_gl0_inv
	ds_store_b128 v96, v[69:72]
	ds_store_b128 v96, v[73:76] offset:4096
	ds_store_b128 v96, v[89:92] offset:8192
	;; [unrolled: 1-line block ×7, first 2 shown]
	s_waitcnt lgkmcnt(0)
	s_barrier
	buffer_gl0_inv
	ds_load_b128 v[88:91], v124
	ds_load_b128 v[76:79], v124 offset:4096
	ds_load_b128 v[92:95], v124 offset:8192
	;; [unrolled: 1-line block ×7, first 2 shown]
	v_add_f32_e32 v182, v26, v42
	v_add_f32_e32 v148, v176, v178
	s_waitcnt lgkmcnt(0)
	s_barrier
	buffer_gl0_inv
	v_add_f32_e32 v150, v180, v182
	v_add_f32_e32 v226, v31, v47
	v_add_f32_e32 v216, v57, v61
	v_add_f32_e32 v218, v59, v63
	v_add_f32_e32 v220, v33, v53
	v_add_f32_e32 v222, v35, v55
	v_add_f32_e32 v224, v29, v45
	v_add_f32_e32 v228, v13, v21
	v_add_f32_e32 v230, v15, v23
	v_add_f32_e32 v232, v89, v93
	v_add_f32_e32 v236, v77, v85
	ds_store_b128 v96, v[125:128]
	ds_store_b128 v96, v[97:100] offset:4096
	ds_store_b128 v96, v[138:141] offset:8192
	ds_store_b128 v96, v[101:104] offset:12288
	ds_store_b128 v96, v[142:145] offset:16384
	ds_store_b128 v96, v[105:108] offset:20480
	ds_store_b128 v96, v[152:155] offset:24576
	ds_store_b128 v96, v[134:137] offset:28672
	s_waitcnt lgkmcnt(0)
	s_barrier
	buffer_gl0_inv
	ds_load_b128 v[100:103], v124
	ds_load_b128 v[96:99], v124 offset:4096
	ds_load_b128 v[104:107], v124 offset:8192
	;; [unrolled: 1-line block ×5, first 2 shown]
	v_dual_add_f32 v175, v11, v19 :: v_dual_add_f32 v244, v65, v69
	ds_load_b128 v[112:115], v124 offset:20480
	ds_load_b128 v[124:127], v124 offset:28672
	v_add_f32_e32 v191, v222, v230
	v_dual_add_f32 v173, v10, v18 :: v_dual_add_f32 v240, v73, v81
	v_add_f32_e32 v147, v174, v175
	v_add_f32_e32 v187, v218, v226
	;; [unrolled: 1-line block ×4, first 2 shown]
	v_dual_add_f32 v129, v168, v170 :: v_dual_add_f32 v242, v75, v83
	v_dual_add_f32 v133, v172, v173 :: v_dual_add_f32 v246, v67, v71
	v_add_f32_e32 v239, v72, v80
	v_add_f32_e32 v241, v74, v82
	;; [unrolled: 1-line block ×3, first 2 shown]
	s_waitcnt lgkmcnt(5)
	v_add_f32_e32 v247, v100, v104
	s_waitcnt lgkmcnt(2)
	v_dual_add_f32 v215, v56, v60 :: v_dual_add_f32 v136, v123, v119
	v_add_f32_e32 v255, v120, v116
	v_dual_add_f32 v237, v78, v86 :: v_dual_add_f32 v134, v121, v117
	v_add_f32_e32 v243, v64, v68
	s_waitcnt lgkmcnt(0)
	v_dual_add_f32 v217, v58, v62 :: v_dual_add_f32 v138, v113, v125
	v_dual_add_f32 v200, v247, v255 :: v_dual_add_f32 v235, v76, v84
	;; [unrolled: 1-line block ×4, first 2 shown]
	v_add_f32_e32 v234, v91, v95
	s_delay_alu instid0(VALU_DEP_4) | instskip(NEXT) | instid1(VALU_DEP_4)
	v_dual_add_f32 v196, v235, v243 :: v_dual_add_f32 v231, v88, v92
	v_dual_add_f32 v194, v233, v241 :: v_dual_add_f32 v229, v14, v22
	;; [unrolled: 1-line block ×3, first 2 shown]
	s_delay_alu instid0(VALU_DEP_3) | instskip(SKIP_3) | instid1(VALU_DEP_4)
	v_dual_add_f32 v192, v231, v239 :: v_dual_add_f32 v227, v12, v20
	v_add_f32_e32 v225, v30, v46
	v_dual_add_f32 v177, v37, v49 :: v_dual_add_f32 v250, v103, v107
	v_dual_add_f32 v179, v25, v41 :: v_dual_add_f32 v254, v99, v111
	;; [unrolled: 1-line block ×3, first 2 shown]
	s_delay_alu instid0(VALU_DEP_4) | instskip(SKIP_1) | instid1(VALU_DEP_3)
	v_dual_add_f32 v186, v217, v225 :: v_dual_add_f32 v221, v34, v54
	v_add_f32_e32 v131, v169, v171
	v_dual_add_f32 v185, v216, v224 :: v_dual_add_f32 v184, v215, v223
	v_add_f32_e32 v149, v177, v179
	v_dual_add_f32 v181, v39, v51 :: v_dual_add_f32 v248, v101, v105
	v_dual_add_f32 v183, v27, v43 :: v_dual_add_f32 v252, v97, v109
	s_delay_alu instid0(VALU_DEP_4) | instskip(SKIP_1) | instid1(VALU_DEP_3)
	v_add_f32_e32 v128, v129, v184
	v_dual_add_f32 v190, v221, v229 :: v_dual_add_f32 v249, v102, v106
	v_add_f32_e32 v151, v181, v183
	v_add_f32_e32 v193, v232, v240
	scratch_store_b32 off, v128, off offset:88 ; 4-byte Folded Spill
	v_dual_add_f32 v128, v131, v185 :: v_dual_add_f32 v197, v236, v244
	v_add_f32_e32 v201, v248, v134
	v_add_f32_e32 v251, v96, v108
	v_add_f32_e32 v205, v252, v138
	scratch_store_b32 off, v128, off offset:92 ; 4-byte Folded Spill
	v_dual_add_f32 v128, v133, v186 :: v_dual_add_f32 v137, v112, v124
	v_add_f32_e32 v195, v234, v242
	;; [unrolled: 5-line block ×3, first 2 shown]
	v_add_f32_e32 v139, v114, v126
	s_add_u32 s0, s22, s0
	scratch_store_b32 off, v128, off offset:72 ; 4-byte Folded Spill
	v_add_f32_e32 v128, v148, v188
	s_addc_u32 s1, s23, s1
	scratch_store_b32 off, v128, off offset:80 ; 4-byte Folded Spill
	v_add_f32_e32 v128, v149, v189
	scratch_store_b32 off, v128, off offset:76 ; 4-byte Folded Spill
	v_add_f32_e32 v128, v150, v190
	;; [unrolled: 2-line block ×5, first 2 shown]
	v_dual_add_f32 v204, v251, v137 :: v_dual_add_f32 v135, v122, v118
	scratch_store_b32 off, v128, off offset:124 ; 4-byte Folded Spill
	v_add_f32_e32 v202, v249, v135
	s_delay_alu instid0(VALU_DEP_1)
	v_add_f32_e32 v128, v194, v202
	scratch_store_b32 off, v128, off offset:128 ; 4-byte Folded Spill
	v_add_f32_e32 v128, v195, v203
	v_add_f32_e32 v206, v253, v139
	scratch_store_b32 off, v128, off offset:104 ; 4-byte Folded Spill
	v_add_f32_e32 v128, v196, v204
	scratch_store_b32 off, v128, off offset:112 ; 4-byte Folded Spill
	;; [unrolled: 2-line block ×5, first 2 shown]
	s_and_saveexec_b32 s15, s16
	s_cbranch_execz .LBB25_34
; %bb.33:
	v_dual_add_f32 v128, v151, v191 :: v_dual_add_f32 v141, v197, v205
	v_add_f32_e32 v130, v199, v207
	v_add_f32_e32 v132, v198, v206
	v_dual_add_f32 v142, v196, v204 :: v_dual_add_f32 v143, v195, v203
	v_add_f32_e32 v144, v192, v200
	s_delay_alu instid0(VALU_DEP_4) | instskip(SKIP_1) | instid1(VALU_DEP_1)
	v_add_f32_e32 v128, v128, v130
	v_add_f32_e32 v130, v150, v190
	;; [unrolled: 1-line block ×4, first 2 shown]
	s_delay_alu instid0(VALU_DEP_1) | instskip(SKIP_1) | instid1(VALU_DEP_1)
	v_add_f32_e32 v132, v132, v141
	v_add_f32_e32 v141, v148, v188
	v_dual_add_f32 v141, v141, v142 :: v_dual_add_f32 v142, v147, v187
	s_delay_alu instid0(VALU_DEP_1) | instskip(SKIP_2) | instid1(VALU_DEP_1)
	v_add_f32_e32 v145, v142, v143
	v_add_f32_e32 v143, v194, v202
	;; [unrolled: 1-line block ×3, first 2 shown]
	v_dual_add_f32 v142, v142, v143 :: v_dual_add_f32 v143, v129, v184
	s_delay_alu instid0(VALU_DEP_1) | instskip(NEXT) | instid1(VALU_DEP_2)
	v_fma_mixlo_f16 v142, s21, v142, 0
	v_add_f32_e32 v152, v143, v144
	v_add_f32_e32 v143, v131, v185
	;; [unrolled: 1-line block ×3, first 2 shown]
	s_delay_alu instid0(VALU_DEP_4) | instskip(NEXT) | instid1(VALU_DEP_2)
	v_fma_mixhi_f16 v142, s21, v145, 0
	v_add_f32_e32 v153, v143, v144
	v_fma_mixlo_f16 v144, s21, v130, 0
	v_fma_mixlo_f16 v143, s21, v141, 0
	;; [unrolled: 1-line block ×3, first 2 shown]
	s_delay_alu instid0(VALU_DEP_3) | instskip(NEXT) | instid1(VALU_DEP_3)
	v_fma_mixhi_f16 v144, s21, v128, 0
	v_fma_mixhi_f16 v143, s21, v132, 0
	s_delay_alu instid0(VALU_DEP_3)
	v_fma_mixhi_f16 v141, s21, v153, 0
	global_store_b128 v146, v[141:144], s[0:1]
.LBB25_34:
	s_or_b32 exec_lo, exec_lo, s15
	v_dual_sub_f32 v132, v10, v18 :: v_dual_sub_f32 v37, v37, v49
	v_dual_sub_f32 v128, v7, v3 :: v_dual_sub_f32 v41, v25, v41
	;; [unrolled: 1-line block ×4, first 2 shown]
	v_sub_f32_e32 v130, v11, v19
	v_dual_sub_f32 v42, v26, v42 :: v_dual_sub_f32 v33, v33, v53
	v_sub_f32_e32 v32, v32, v52
	v_dual_sub_f32 v52, v13, v21 :: v_dual_sub_f32 v79, v79, v87
	v_dual_sub_f32 v141, v5, v1 :: v_dual_sub_f32 v142, v4, v0
	;; [unrolled: 1-line block ×3, first 2 shown]
	v_sub_f32_e32 v145, v6, v2
	v_dual_sub_f32 v38, v38, v50 :: v_dual_sub_f32 v49, v56, v60
	v_add_f32_e32 v211, v36, v40
	v_dual_add_f32 v210, v128, v130 :: v_dual_sub_f32 v35, v35, v55
	s_delay_alu instid0(VALU_DEP_3)
	v_dual_add_f32 v212, v37, v41 :: v_dual_add_f32 v213, v38, v42
	v_dual_add_f32 v214, v39, v43 :: v_dual_sub_f32 v51, v58, v62
	v_dual_sub_f32 v48, v57, v61 :: v_dual_sub_f32 v47, v31, v47
	v_dual_sub_f32 v50, v59, v63 :: v_dual_sub_f32 v45, v29, v45
	;; [unrolled: 1-line block ×13, first 2 shown]
	v_sub_f32_e32 v159, v98, v110
	v_dual_sub_f32 v66, v66, v70 :: v_dual_sub_f32 v157, v96, v108
	v_dual_sub_f32 v152, v101, v105 :: v_dual_sub_f32 v161, v120, v116
	v_dual_sub_f32 v154, v103, v107 :: v_dual_sub_f32 v163, v122, v118
	v_dual_sub_f32 v156, v97, v109 :: v_dual_sub_f32 v165, v112, v124
	v_dual_sub_f32 v158, v99, v111 :: v_dual_sub_f32 v167, v114, v126
	v_dual_sub_f32 v160, v121, v117 :: v_dual_add_f32 v63, v50, v47
	v_dual_sub_f32 v162, v123, v119 :: v_dual_add_f32 v61, v48, v45
	;; [unrolled: 1-line block ×4, first 2 shown]
	v_add_f32_e32 v208, v141, v144
	v_dual_add_f32 v146, v142, v143 :: v_dual_add_f32 v209, v145, v132
	v_dual_add_f32 v60, v49, v44 :: v_dual_add_f32 v75, v58, v94
	;; [unrolled: 1-line block ×12, first 2 shown]
	v_add_f32_e32 v88, v157, v165
	v_dual_add_f32 v4, v146, v60 :: v_dual_add_f32 v7, v213, v70
	v_dual_add_f32 v6, v209, v62 :: v_dual_add_f32 v11, v83, v91
	;; [unrolled: 1-line block ×4, first 2 shown]
	v_add_f32_e32 v12, v72, v84
	v_add_f32_e32 v14, v74, v86
	v_dual_add_f32 v8, v75, v87 :: v_dual_add_f32 v15, v82, v90
	v_add_f32_e32 v10, v80, v88
	s_and_saveexec_b32 s15, s10
	s_cbranch_execz .LBB25_36
; %bb.35:
	v_dual_add_f32 v16, v4, v12 :: v_dual_add_f32 v17, v6, v14
	s_delay_alu instid0(VALU_DEP_2) | instskip(SKIP_1) | instid1(VALU_DEP_3)
	v_dual_add_f32 v20, v5, v13 :: v_dual_add_f32 v21, v2, v10
	v_dual_add_f32 v18, v7, v15 :: v_dual_add_f32 v23, v1, v9
	v_fma_mixlo_f16 v16, s21, v16, 0
	v_add_f32_e32 v22, v0, v8
	v_add_f32_e32 v24, v3, v11
	s_delay_alu instid0(VALU_DEP_4)
	v_fma_mixlo_f16 v19, s21, v18, 0
	v_fma_mixlo_f16 v18, s21, v21, 0
	v_fma_mixhi_f16 v16, s21, v20, 0
	scratch_load_b32 v20, off, off offset:44 ; 4-byte Folded Reload
	v_fma_mixlo_f16 v17, s21, v17, 0
	v_fma_mixhi_f16 v19, s21, v24, 0
	v_fma_mixhi_f16 v18, s21, v23, 0
	s_delay_alu instid0(VALU_DEP_3)
	v_fma_mixhi_f16 v17, s21, v22, 0
	s_waitcnt vmcnt(0)
	global_store_b128 v20, v[16:19], s[0:1]
.LBB25_36:
	s_or_b32 exec_lo, exec_lo, s15
	v_dual_sub_f32 v96, v168, v170 :: v_dual_sub_f32 v97, v169, v171
	v_dual_sub_f32 v98, v172, v173 :: v_dual_sub_f32 v99, v174, v175
	;; [unrolled: 1-line block ×16, first 2 shown]
	v_dual_add_f32 v20, v96, v104 :: v_dual_add_f32 v21, v97, v105
	v_dual_add_f32 v22, v98, v106 :: v_dual_add_f32 v17, v101, v109
	;; [unrolled: 1-line block ×8, first 2 shown]
	s_and_saveexec_b32 s10, s7
	s_cbranch_execz .LBB25_38
; %bb.37:
	v_dual_add_f32 v134, v20, v28 :: v_dual_add_f32 v135, v22, v30
	s_delay_alu instid0(VALU_DEP_2) | instskip(SKIP_1) | instid1(VALU_DEP_3)
	v_dual_add_f32 v138, v21, v29 :: v_dual_add_f32 v139, v18, v26
	v_add_f32_e32 v136, v23, v31
	v_fma_mixlo_f16 v134, s21, v134, 0
	v_dual_add_f32 v140, v16, v24 :: v_dual_add_f32 v169, v19, v27
	v_add_f32_e32 v168, v17, v25
	s_delay_alu instid0(VALU_DEP_4) | instskip(NEXT) | instid1(VALU_DEP_4)
	v_fma_mixlo_f16 v137, s21, v136, 0
	v_fma_mixhi_f16 v134, s21, v138, 0
	scratch_load_b32 v138, off, off offset:32 ; 4-byte Folded Reload
	v_fma_mixlo_f16 v136, s21, v139, 0
	v_fma_mixlo_f16 v135, s21, v135, 0
	v_fma_mixhi_f16 v137, s21, v169, 0
	s_delay_alu instid0(VALU_DEP_3) | instskip(NEXT) | instid1(VALU_DEP_3)
	v_fma_mixhi_f16 v136, s21, v168, 0
	v_fma_mixhi_f16 v135, s21, v140, 0
	s_waitcnt vmcnt(0)
	global_store_b128 v138, v[134:137], s[0:1]
.LBB25_38:
	s_or_b32 exec_lo, exec_lo, s10
	v_dual_sub_f32 v134, v141, v144 :: v_dual_sub_f32 v135, v142, v143
	v_dual_sub_f32 v136, v128, v130 :: v_dual_sub_f32 v137, v145, v132
	;; [unrolled: 1-line block ×15, first 2 shown]
	v_dual_sub_f32 v182, v156, v164 :: v_dual_add_f32 v37, v134, v141
	v_dual_sub_f32 v216, v159, v167 :: v_dual_add_f32 v33, v138, v170
	v_dual_add_f32 v36, v135, v142 :: v_dual_add_f32 v35, v140, v172
	v_dual_add_f32 v38, v137, v169 :: v_dual_add_f32 v45, v174, v128
	;; [unrolled: 1-line block ×5, first 2 shown]
	v_add_f32_e32 v46, v177, v145
	v_add_f32_e32 v40, v176, v144
	v_dual_add_f32 v42, v179, v183 :: v_dual_add_f32 v47, v181, v216
	s_and_saveexec_b32 s7, vcc_lo
	s_cbranch_execz .LBB25_40
; %bb.39:
	v_dual_add_f32 v48, v36, v44 :: v_dual_add_f32 v49, v38, v46
	s_delay_alu instid0(VALU_DEP_2) | instskip(SKIP_1) | instid1(VALU_DEP_3)
	v_dual_add_f32 v52, v37, v45 :: v_dual_add_f32 v53, v34, v42
	v_dual_add_f32 v50, v39, v47 :: v_dual_add_f32 v55, v33, v41
	v_fma_mixlo_f16 v48, s21, v48, 0
	v_add_f32_e32 v54, v32, v40
	v_add_f32_e32 v56, v35, v43
	s_delay_alu instid0(VALU_DEP_4)
	v_fma_mixlo_f16 v51, s21, v50, 0
	v_fma_mixlo_f16 v50, s21, v53, 0
	v_fma_mixhi_f16 v48, s21, v52, 0
	scratch_load_b32 v52, off, off offset:8 ; 4-byte Folded Reload
	v_fma_mixlo_f16 v49, s21, v49, 0
	v_fma_mixhi_f16 v51, s21, v56, 0
	v_fma_mixhi_f16 v50, s21, v55, 0
	s_delay_alu instid0(VALU_DEP_3)
	v_fma_mixhi_f16 v49, s21, v54, 0
	s_waitcnt vmcnt(0)
	global_store_b128 v52, v[48:51], s[0:1]
.LBB25_40:
	s_or_b32 exec_lo, exec_lo, s7
	v_dual_sub_f32 v52, v129, v184 :: v_dual_sub_f32 v53, v131, v185
	v_dual_sub_f32 v54, v133, v186 :: v_dual_sub_f32 v51, v151, v191
	;; [unrolled: 1-line block ×8, first 2 shown]
	s_and_saveexec_b32 s7, s2
	s_cbranch_execz .LBB25_42
; %bb.41:
	v_dual_add_f32 v76, v52, v64 :: v_dual_add_f32 v77, v54, v66
	s_delay_alu instid0(VALU_DEP_2) | instskip(SKIP_1) | instid1(VALU_DEP_3)
	v_dual_add_f32 v92, v53, v65 :: v_dual_add_f32 v93, v50, v58
	v_dual_add_f32 v78, v55, v67 :: v_dual_add_f32 v95, v49, v57
	v_fma_mixlo_f16 v76, s21, v76, 0
	v_dual_add_f32 v94, v48, v56 :: v_dual_add_f32 v129, v51, v59
	s_delay_alu instid0(VALU_DEP_3) | instskip(SKIP_1) | instid1(VALU_DEP_4)
	v_fma_mixlo_f16 v79, s21, v78, 0
	v_fma_mixlo_f16 v78, s21, v93, 0
	v_fma_mixhi_f16 v76, s21, v92, 0
	scratch_load_b32 v92, off, off offset:12 ; 4-byte Folded Reload
	v_fma_mixlo_f16 v77, s21, v77, 0
	v_fma_mixhi_f16 v79, s21, v129, 0
	v_fma_mixhi_f16 v78, s21, v95, 0
	s_delay_alu instid0(VALU_DEP_3)
	v_fma_mixhi_f16 v77, s21, v94, 0
	s_waitcnt vmcnt(0)
	global_store_b128 v92, v[76:79], s[0:1]
.LBB25_42:
	s_or_b32 exec_lo, exec_lo, s7
	v_dual_sub_f32 v76, v146, v60 :: v_dual_sub_f32 v77, v208, v61
	v_dual_sub_f32 v78, v209, v62 :: v_dual_sub_f32 v79, v210, v63
	;; [unrolled: 1-line block ×8, first 2 shown]
	s_and_saveexec_b32 s2, s3
	s_cbranch_execz .LBB25_44
; %bb.43:
	v_dual_add_f32 v68, v76, v92 :: v_dual_add_f32 v69, v78, v94
	v_dual_add_f32 v80, v77, v93 :: v_dual_add_f32 v81, v60, v72
	;; [unrolled: 1-line block ×3, first 2 shown]
	s_delay_alu instid0(VALU_DEP_3) | instskip(SKIP_2) | instid1(VALU_DEP_4)
	v_fma_mixlo_f16 v68, s21, v68, 0
	v_add_f32_e32 v82, v79, v95
	v_add_f32_e32 v84, v63, v75
	v_fma_mixlo_f16 v71, s21, v70, 0
	v_fma_mixlo_f16 v70, s21, v81, 0
	v_fma_mixhi_f16 v68, s21, v80, 0
	scratch_load_b32 v80, off, off offset:16 ; 4-byte Folded Reload
	v_fma_mixlo_f16 v69, s21, v69, 0
	v_fma_mixhi_f16 v71, s21, v84, 0
	v_fma_mixhi_f16 v70, s21, v83, 0
	s_delay_alu instid0(VALU_DEP_3)
	v_fma_mixhi_f16 v69, s21, v82, 0
	s_waitcnt vmcnt(0)
	global_store_b128 v80, v[68:71], s[0:1]
.LBB25_44:
	s_or_b32 exec_lo, exec_lo, s2
	v_dual_sub_f32 v88, v96, v104 :: v_dual_sub_f32 v89, v97, v105
	v_dual_sub_f32 v90, v98, v106 :: v_dual_sub_f32 v91, v99, v107
	;; [unrolled: 1-line block ×8, first 2 shown]
	s_and_saveexec_b32 s2, s4
	s_cbranch_execz .LBB25_46
; %bb.45:
	v_dual_add_f32 v80, v88, v104 :: v_dual_add_f32 v81, v90, v106
	v_dual_add_f32 v96, v89, v105 :: v_dual_add_f32 v97, v68, v84
	;; [unrolled: 1-line block ×3, first 2 shown]
	s_delay_alu instid0(VALU_DEP_3) | instskip(SKIP_2) | instid1(VALU_DEP_4)
	v_fma_mixlo_f16 v80, s21, v80, 0
	v_add_f32_e32 v98, v91, v107
	v_add_f32_e32 v100, v71, v87
	v_fma_mixlo_f16 v83, s21, v82, 0
	v_fma_mixlo_f16 v82, s21, v97, 0
	v_fma_mixhi_f16 v80, s21, v96, 0
	scratch_load_b32 v96, off, off offset:20 ; 4-byte Folded Reload
	v_fma_mixlo_f16 v81, s21, v81, 0
	v_fma_mixhi_f16 v83, s21, v100, 0
	v_fma_mixhi_f16 v82, s21, v99, 0
	s_delay_alu instid0(VALU_DEP_3)
	v_fma_mixhi_f16 v81, s21, v98, 0
	s_waitcnt vmcnt(0)
	global_store_b128 v96, v[80:83], s[0:1]
.LBB25_46:
	s_or_b32 exec_lo, exec_lo, s2
	v_dual_sub_f32 v100, v134, v141 :: v_dual_sub_f32 v101, v135, v142
	v_dual_sub_f32 v102, v136, v168 :: v_dual_sub_f32 v103, v137, v169
	;; [unrolled: 1-line block ×8, first 2 shown]
	s_and_saveexec_b32 s2, s5
	s_cbranch_execnz .LBB25_56
; %bb.47:
	s_or_b32 exec_lo, exec_lo, s2
	s_and_saveexec_b32 s2, s6
	s_cbranch_execnz .LBB25_57
.LBB25_48:
	s_or_b32 exec_lo, exec_lo, s2
	s_and_saveexec_b32 s2, s8
	s_cbranch_execnz .LBB25_58
.LBB25_49:
	s_or_b32 exec_lo, exec_lo, s2
	s_and_saveexec_b32 s2, s9
	s_cbranch_execnz .LBB25_59
.LBB25_50:
	s_or_b32 exec_lo, exec_lo, s2
	s_and_saveexec_b32 s2, s11
	s_cbranch_execnz .LBB25_60
.LBB25_51:
	s_or_b32 exec_lo, exec_lo, s2
	s_and_saveexec_b32 s2, s12
	s_cbranch_execnz .LBB25_61
.LBB25_52:
	s_or_b32 exec_lo, exec_lo, s2
	s_and_saveexec_b32 s2, s13
	s_cbranch_execnz .LBB25_62
.LBB25_53:
	s_or_b32 exec_lo, exec_lo, s2
	s_and_saveexec_b32 s2, s14
	s_cbranch_execnz .LBB25_63
.LBB25_54:
	s_or_b32 exec_lo, exec_lo, s2
	s_and_saveexec_b32 s2, s17
	s_cbranch_execnz .LBB25_64
.LBB25_55:
	s_endpgm
.LBB25_56:
	v_dual_add_f32 v112, v101, v109 :: v_dual_add_f32 v113, v103, v111
	v_dual_add_f32 v116, v100, v108 :: v_dual_add_f32 v117, v81, v97
	;; [unrolled: 1-line block ×3, first 2 shown]
	s_delay_alu instid0(VALU_DEP_3) | instskip(SKIP_2) | instid1(VALU_DEP_4)
	v_fma_mixlo_f16 v112, s21, v112, 0
	v_add_f32_e32 v118, v102, v110
	v_add_f32_e32 v120, v82, v98
	v_fma_mixlo_f16 v115, s21, v114, 0
	v_fma_mixlo_f16 v114, s21, v117, 0
	v_fma_mixhi_f16 v112, s21, v116, 0
	scratch_load_b32 v116, off, off offset:24 ; 4-byte Folded Reload
	v_fma_mixlo_f16 v113, s21, v113, 0
	v_fma_mixhi_f16 v115, s21, v120, 0
	v_fma_mixhi_f16 v114, s21, v119, 0
	s_delay_alu instid0(VALU_DEP_3)
	v_fma_mixhi_f16 v113, s21, v118, 0
	s_waitcnt vmcnt(0)
	global_store_b128 v116, v[112:115], s[0:1]
	s_or_b32 exec_lo, exec_lo, s2
	s_and_saveexec_b32 s2, s6
	s_cbranch_execz .LBB25_48
.LBB25_57:
	s_clause 0x1
	scratch_load_b32 v112, off, off offset:88
	scratch_load_b32 v113, off, off offset:120
	s_waitcnt vmcnt(0)
	v_sub_f32_e32 v112, v112, v113
	s_clause 0x1
	scratch_load_b32 v113, off, off offset:92
	scratch_load_b32 v114, off, off offset:124
	s_waitcnt vmcnt(0)
	v_sub_f32_e32 v116, v113, v114
	;; [unrolled: 5-line block ×3, first 2 shown]
	s_clause 0x1
	scratch_load_b32 v114, off, off offset:100
	scratch_load_b32 v115, off, off offset:132
	v_fma_mixlo_f16 v112, s21, v112, 0
	v_fma_mixlo_f16 v113, s21, v113, 0
	s_waitcnt vmcnt(0)
	v_sub_f32_e32 v114, v114, v115
	s_clause 0x1
	scratch_load_b32 v115, off, off offset:80
	scratch_load_b32 v117, off, off offset:112
	s_waitcnt vmcnt(0)
	v_sub_f32_e32 v117, v115, v117
	s_clause 0x1
	scratch_load_b32 v115, off, off offset:72
	scratch_load_b32 v118, off, off offset:104
	v_fma_mixhi_f16 v112, s21, v116, 0
	s_waitcnt vmcnt(0)
	v_sub_f32_e32 v118, v115, v118
	s_clause 0x1
	scratch_load_b32 v115, off, off offset:76
	scratch_load_b32 v119, off, off offset:108
	v_fma_mixhi_f16 v113, s21, v118, 0
	s_waitcnt vmcnt(0)
	v_sub_f32_e32 v119, v115, v119
	s_clause 0x2
	scratch_load_b32 v115, off, off offset:84
	scratch_load_b32 v120, off, off offset:116
	scratch_load_b32 v116, off, off offset:28
	s_waitcnt vmcnt(1)
	v_sub_f32_e32 v120, v115, v120
	v_fma_mixlo_f16 v115, s21, v114, 0
	v_fma_mixlo_f16 v114, s21, v117, 0
	s_delay_alu instid0(VALU_DEP_2) | instskip(NEXT) | instid1(VALU_DEP_2)
	v_fma_mixhi_f16 v115, s21, v120, 0
	v_fma_mixhi_f16 v114, s21, v119, 0
	s_waitcnt vmcnt(0)
	global_store_b128 v116, v[112:115], s[0:1]
	s_or_b32 exec_lo, exec_lo, s2
	s_and_saveexec_b32 s2, s8
	s_cbranch_execz .LBB25_49
.LBB25_58:
	v_dual_sub_f32 v4, v4, v12 :: v_dual_sub_f32 v5, v5, v13
	v_sub_f32_e32 v8, v0, v8
	v_dual_sub_f32 v6, v6, v14 :: v_dual_sub_f32 v7, v7, v15
	s_delay_alu instid0(VALU_DEP_3)
	v_fma_mixlo_f16 v0, s21, v4, 0
	scratch_load_b32 v4, off, off offset:36 ; 4-byte Folded Reload
	v_dual_sub_f32 v2, v2, v10 :: v_dual_sub_f32 v9, v1, v9
	v_sub_f32_e32 v10, v3, v11
	v_fma_mixlo_f16 v3, s21, v7, 0
	v_fma_mixlo_f16 v1, s21, v6, 0
	s_delay_alu instid0(VALU_DEP_4) | instskip(SKIP_1) | instid1(VALU_DEP_4)
	v_fma_mixlo_f16 v2, s21, v2, 0
	v_fma_mixhi_f16 v0, s21, v5, 0
	v_fma_mixhi_f16 v3, s21, v10, 0
	s_delay_alu instid0(VALU_DEP_4) | instskip(NEXT) | instid1(VALU_DEP_4)
	v_fma_mixhi_f16 v1, s21, v8, 0
	v_fma_mixhi_f16 v2, s21, v9, 0
	s_waitcnt vmcnt(0)
	global_store_b128 v4, v[0:3], s[0:1]
	s_or_b32 exec_lo, exec_lo, s2
	s_and_saveexec_b32 s2, s9
	s_cbranch_execz .LBB25_50
.LBB25_59:
	v_dual_sub_f32 v0, v20, v28 :: v_dual_sub_f32 v1, v22, v30
	v_dual_sub_f32 v4, v21, v29 :: v_dual_sub_f32 v5, v18, v26
	;; [unrolled: 1-line block ×3, first 2 shown]
	s_delay_alu instid0(VALU_DEP_3) | instskip(SKIP_2) | instid1(VALU_DEP_4)
	v_fma_mixlo_f16 v0, s21, v0, 0
	v_sub_f32_e32 v6, v16, v24
	v_sub_f32_e32 v8, v19, v27
	v_fma_mixlo_f16 v3, s21, v2, 0
	v_fma_mixlo_f16 v2, s21, v5, 0
	v_fma_mixhi_f16 v0, s21, v4, 0
	scratch_load_b32 v4, off, off offset:40 ; 4-byte Folded Reload
	v_fma_mixlo_f16 v1, s21, v1, 0
	v_fma_mixhi_f16 v3, s21, v8, 0
	v_fma_mixhi_f16 v2, s21, v7, 0
	s_delay_alu instid0(VALU_DEP_3)
	v_fma_mixhi_f16 v1, s21, v6, 0
	s_waitcnt vmcnt(0)
	global_store_b128 v4, v[0:3], s[0:1]
	s_or_b32 exec_lo, exec_lo, s2
	s_and_saveexec_b32 s2, s11
	s_cbranch_execz .LBB25_51
.LBB25_60:
	v_dual_sub_f32 v0, v36, v44 :: v_dual_sub_f32 v1, v38, v46
	v_dual_sub_f32 v4, v37, v45 :: v_dual_sub_f32 v5, v34, v42
	;; [unrolled: 1-line block ×3, first 2 shown]
	s_delay_alu instid0(VALU_DEP_3) | instskip(SKIP_2) | instid1(VALU_DEP_4)
	v_fma_mixlo_f16 v0, s21, v0, 0
	v_sub_f32_e32 v6, v32, v40
	v_sub_f32_e32 v8, v35, v43
	v_fma_mixlo_f16 v3, s21, v2, 0
	v_fma_mixlo_f16 v2, s21, v5, 0
	v_fma_mixhi_f16 v0, s21, v4, 0
	scratch_load_b32 v4, off, off offset:48 ; 4-byte Folded Reload
	v_fma_mixlo_f16 v1, s21, v1, 0
	v_fma_mixhi_f16 v3, s21, v8, 0
	v_fma_mixhi_f16 v2, s21, v7, 0
	s_delay_alu instid0(VALU_DEP_3)
	v_fma_mixhi_f16 v1, s21, v6, 0
	s_waitcnt vmcnt(0)
	global_store_b128 v4, v[0:3], s[0:1]
	s_or_b32 exec_lo, exec_lo, s2
	s_and_saveexec_b32 s2, s12
	s_cbranch_execz .LBB25_52
.LBB25_61:
	v_dual_sub_f32 v0, v52, v64 :: v_dual_sub_f32 v1, v54, v66
	v_dual_sub_f32 v4, v53, v65 :: v_dual_sub_f32 v5, v50, v58
	;; [unrolled: 1-line block ×3, first 2 shown]
	s_delay_alu instid0(VALU_DEP_3) | instskip(SKIP_2) | instid1(VALU_DEP_4)
	v_fma_mixlo_f16 v0, s21, v0, 0
	v_sub_f32_e32 v6, v48, v56
	v_sub_f32_e32 v8, v51, v59
	v_fma_mixlo_f16 v3, s21, v2, 0
	v_fma_mixlo_f16 v2, s21, v5, 0
	v_fma_mixhi_f16 v0, s21, v4, 0
	scratch_load_b32 v4, off, off offset:52 ; 4-byte Folded Reload
	v_fma_mixlo_f16 v1, s21, v1, 0
	v_fma_mixhi_f16 v3, s21, v8, 0
	v_fma_mixhi_f16 v2, s21, v7, 0
	s_delay_alu instid0(VALU_DEP_3)
	v_fma_mixhi_f16 v1, s21, v6, 0
	s_waitcnt vmcnt(0)
	global_store_b128 v4, v[0:3], s[0:1]
	s_or_b32 exec_lo, exec_lo, s2
	s_and_saveexec_b32 s2, s13
	s_cbranch_execz .LBB25_53
.LBB25_62:
	scratch_load_b64 v[2:3], off, off offset:56 ; 8-byte Folded Reload
	v_dual_sub_f32 v0, v76, v92 :: v_dual_sub_f32 v1, v78, v94
	v_dual_sub_f32 v6, v77, v93 :: v_dual_sub_f32 v7, v79, v95
	;; [unrolled: 1-line block ×3, first 2 shown]
	s_delay_alu instid0(VALU_DEP_3) | instskip(NEXT) | instid1(VALU_DEP_4)
	v_fma_mixlo_f16 v0, s21, v0, 0
	v_fma_mixlo_f16 v1, s21, v1, 0
	v_mov_b32_e32 v5, 0
	s_waitcnt vmcnt(0)
	v_sub_f32_e32 v3, v62, v74
	v_fma_mixhi_f16 v0, s21, v6, 0
	v_fma_mixhi_f16 v1, s21, v7, 0
	s_delay_alu instid0(VALU_DEP_3) | instskip(NEXT) | instid1(VALU_DEP_1)
	v_fma_mixlo_f16 v3, s21, v3, 0
	v_fma_mixhi_f16 v3, s21, v9, 0
	v_mov_b32_e32 v4, v2
	v_sub_f32_e32 v2, v60, v72
	s_delay_alu instid0(VALU_DEP_2) | instskip(NEXT) | instid1(VALU_DEP_2)
	v_lshlrev_b64 v[4:5], 4, v[4:5]
	v_fma_mixlo_f16 v2, s21, v2, 0
	s_delay_alu instid0(VALU_DEP_1) | instskip(NEXT) | instid1(VALU_DEP_3)
	v_fma_mixhi_f16 v2, s21, v8, 0
	v_add_co_u32 v4, vcc_lo, s0, v4
	s_delay_alu instid0(VALU_DEP_4)
	v_add_co_ci_u32_e32 v5, vcc_lo, s1, v5, vcc_lo
	global_store_b128 v[4:5], v[0:3], off
	s_or_b32 exec_lo, exec_lo, s2
	s_and_saveexec_b32 s2, s14
	s_cbranch_execz .LBB25_54
.LBB25_63:
	scratch_load_b64 v[2:3], off, off offset:64 ; 8-byte Folded Reload
	v_dual_sub_f32 v0, v88, v104 :: v_dual_sub_f32 v1, v90, v106
	v_dual_sub_f32 v6, v89, v105 :: v_dual_sub_f32 v7, v91, v107
	;; [unrolled: 1-line block ×3, first 2 shown]
	s_delay_alu instid0(VALU_DEP_3) | instskip(NEXT) | instid1(VALU_DEP_4)
	v_fma_mixlo_f16 v0, s21, v0, 0
	v_fma_mixlo_f16 v1, s21, v1, 0
	v_mov_b32_e32 v5, 0
	s_waitcnt vmcnt(0)
	v_sub_f32_e32 v3, v70, v86
	v_fma_mixhi_f16 v0, s21, v6, 0
	v_fma_mixhi_f16 v1, s21, v7, 0
	s_delay_alu instid0(VALU_DEP_3) | instskip(NEXT) | instid1(VALU_DEP_1)
	v_fma_mixlo_f16 v3, s21, v3, 0
	v_fma_mixhi_f16 v3, s21, v9, 0
	v_mov_b32_e32 v4, v2
	v_sub_f32_e32 v2, v68, v84
	s_delay_alu instid0(VALU_DEP_2) | instskip(NEXT) | instid1(VALU_DEP_2)
	v_lshlrev_b64 v[4:5], 4, v[4:5]
	v_fma_mixlo_f16 v2, s21, v2, 0
	s_delay_alu instid0(VALU_DEP_1) | instskip(NEXT) | instid1(VALU_DEP_3)
	v_fma_mixhi_f16 v2, s21, v8, 0
	v_add_co_u32 v4, vcc_lo, s0, v4
	s_delay_alu instid0(VALU_DEP_4)
	v_add_co_ci_u32_e32 v5, vcc_lo, s1, v5, vcc_lo
	global_store_b128 v[4:5], v[0:3], off
	s_or_b32 exec_lo, exec_lo, s2
	s_and_saveexec_b32 s2, s17
	s_cbranch_execz .LBB25_55
.LBB25_64:
	scratch_load_b64 v[2:3], off, off       ; 8-byte Folded Reload
	v_dual_sub_f32 v0, v101, v109 :: v_dual_sub_f32 v1, v103, v111
	v_dual_sub_f32 v6, v100, v108 :: v_dual_sub_f32 v7, v102, v110
	;; [unrolled: 1-line block ×3, first 2 shown]
	s_delay_alu instid0(VALU_DEP_3) | instskip(NEXT) | instid1(VALU_DEP_4)
	v_fma_mixlo_f16 v0, s21, v0, 0
	v_fma_mixlo_f16 v1, s21, v1, 0
	v_mov_b32_e32 v5, 0
	s_waitcnt vmcnt(0)
	v_sub_f32_e32 v3, v83, v99
	v_fma_mixhi_f16 v0, s21, v6, 0
	v_fma_mixhi_f16 v1, s21, v7, 0
	s_delay_alu instid0(VALU_DEP_3) | instskip(NEXT) | instid1(VALU_DEP_1)
	v_fma_mixlo_f16 v3, s21, v3, 0
	v_fma_mixhi_f16 v3, s21, v9, 0
	v_mov_b32_e32 v4, v2
	v_sub_f32_e32 v2, v81, v97
	s_delay_alu instid0(VALU_DEP_2) | instskip(NEXT) | instid1(VALU_DEP_2)
	v_lshlrev_b64 v[4:5], 4, v[4:5]
	v_fma_mixlo_f16 v2, s21, v2, 0
	s_delay_alu instid0(VALU_DEP_1) | instskip(NEXT) | instid1(VALU_DEP_3)
	v_fma_mixhi_f16 v2, s21, v8, 0
	v_add_co_u32 v4, vcc_lo, s0, v4
	s_delay_alu instid0(VALU_DEP_4)
	v_add_co_ci_u32_e32 v5, vcc_lo, s1, v5, vcc_lo
	global_store_b128 v[4:5], v[0:3], off
	s_endpgm
	.section	.rodata,"a",@progbits
	.p2align	6, 0x0
	.amdhsa_kernel _Z30fast_hadamard_transform_kernelI37fast_hadamard_transform_kernel_traitsILi256ELi15E6__halfEEv18HadamardParamsBase
		.amdhsa_group_segment_fixed_size 0
		.amdhsa_private_segment_fixed_size 140
		.amdhsa_kernarg_size 312
		.amdhsa_user_sgpr_count 15
		.amdhsa_user_sgpr_dispatch_ptr 0
		.amdhsa_user_sgpr_queue_ptr 0
		.amdhsa_user_sgpr_kernarg_segment_ptr 1
		.amdhsa_user_sgpr_dispatch_id 0
		.amdhsa_user_sgpr_private_segment_size 0
		.amdhsa_wavefront_size32 1
		.amdhsa_uses_dynamic_stack 0
		.amdhsa_enable_private_segment 1
		.amdhsa_system_sgpr_workgroup_id_x 1
		.amdhsa_system_sgpr_workgroup_id_y 0
		.amdhsa_system_sgpr_workgroup_id_z 0
		.amdhsa_system_sgpr_workgroup_info 0
		.amdhsa_system_vgpr_workitem_id 0
		.amdhsa_next_free_vgpr 256
		.amdhsa_next_free_sgpr 30
		.amdhsa_reserve_vcc 1
		.amdhsa_float_round_mode_32 0
		.amdhsa_float_round_mode_16_64 0
		.amdhsa_float_denorm_mode_32 3
		.amdhsa_float_denorm_mode_16_64 3
		.amdhsa_dx10_clamp 1
		.amdhsa_ieee_mode 1
		.amdhsa_fp16_overflow 0
		.amdhsa_workgroup_processor_mode 1
		.amdhsa_memory_ordered 1
		.amdhsa_forward_progress 0
		.amdhsa_shared_vgpr_count 0
		.amdhsa_exception_fp_ieee_invalid_op 0
		.amdhsa_exception_fp_denorm_src 0
		.amdhsa_exception_fp_ieee_div_zero 0
		.amdhsa_exception_fp_ieee_overflow 0
		.amdhsa_exception_fp_ieee_underflow 0
		.amdhsa_exception_fp_ieee_inexact 0
		.amdhsa_exception_int_div_zero 0
	.end_amdhsa_kernel
	.section	.text._Z30fast_hadamard_transform_kernelI37fast_hadamard_transform_kernel_traitsILi256ELi15E6__halfEEv18HadamardParamsBase,"axG",@progbits,_Z30fast_hadamard_transform_kernelI37fast_hadamard_transform_kernel_traitsILi256ELi15E6__halfEEv18HadamardParamsBase,comdat
.Lfunc_end25:
	.size	_Z30fast_hadamard_transform_kernelI37fast_hadamard_transform_kernel_traitsILi256ELi15E6__halfEEv18HadamardParamsBase, .Lfunc_end25-_Z30fast_hadamard_transform_kernelI37fast_hadamard_transform_kernel_traitsILi256ELi15E6__halfEEv18HadamardParamsBase
                                        ; -- End function
	.section	.AMDGPU.csdata,"",@progbits
; Kernel info:
; codeLenInByte = 32604
; NumSgprs: 32
; NumVgprs: 256
; ScratchSize: 140
; MemoryBound: 0
; FloatMode: 240
; IeeeMode: 1
; LDSByteSize: 0 bytes/workgroup (compile time only)
; SGPRBlocks: 3
; VGPRBlocks: 31
; NumSGPRsForWavesPerEU: 32
; NumVGPRsForWavesPerEU: 256
; Occupancy: 5
; WaveLimiterHint : 0
; COMPUTE_PGM_RSRC2:SCRATCH_EN: 1
; COMPUTE_PGM_RSRC2:USER_SGPR: 15
; COMPUTE_PGM_RSRC2:TRAP_HANDLER: 0
; COMPUTE_PGM_RSRC2:TGID_X_EN: 1
; COMPUTE_PGM_RSRC2:TGID_Y_EN: 0
; COMPUTE_PGM_RSRC2:TGID_Z_EN: 0
; COMPUTE_PGM_RSRC2:TIDIG_COMP_CNT: 0
	.section	.text._Z30fast_hadamard_transform_kernelI37fast_hadamard_transform_kernel_traitsILi1ELi3E14__hip_bfloat16EEv18HadamardParamsBase,"axG",@progbits,_Z30fast_hadamard_transform_kernelI37fast_hadamard_transform_kernel_traitsILi1ELi3E14__hip_bfloat16EEv18HadamardParamsBase,comdat
	.protected	_Z30fast_hadamard_transform_kernelI37fast_hadamard_transform_kernel_traitsILi1ELi3E14__hip_bfloat16EEv18HadamardParamsBase ; -- Begin function _Z30fast_hadamard_transform_kernelI37fast_hadamard_transform_kernel_traitsILi1ELi3E14__hip_bfloat16EEv18HadamardParamsBase
	.globl	_Z30fast_hadamard_transform_kernelI37fast_hadamard_transform_kernel_traitsILi1ELi3E14__hip_bfloat16EEv18HadamardParamsBase
	.p2align	8
	.type	_Z30fast_hadamard_transform_kernelI37fast_hadamard_transform_kernel_traitsILi1ELi3E14__hip_bfloat16EEv18HadamardParamsBase,@function
_Z30fast_hadamard_transform_kernelI37fast_hadamard_transform_kernel_traitsILi1ELi3E14__hip_bfloat16EEv18HadamardParamsBase: ; @_Z30fast_hadamard_transform_kernelI37fast_hadamard_transform_kernel_traitsILi1ELi3E14__hip_bfloat16EEv18HadamardParamsBase
; %bb.0:
	s_clause 0x1
	s_load_b32 s5, s[0:1], 0x4
	s_load_b32 s4, s[0:1], 0x20
	s_ashr_i32 s2, s15, 31
	s_mov_b32 s6, 0
	s_mov_b32 s7, 0
	s_mov_b32 s8, 0
	s_mov_b32 s9, 0
	s_mov_b32 s10, 0
	s_mov_b32 s11, 0
	s_mov_b32 s12, 0
	s_mov_b32 s13, 0
	s_waitcnt lgkmcnt(0)
	s_cmp_lg_u32 s5, 0
	s_cselect_b32 s3, -1, 0
	s_cmp_eq_u32 s5, 0
	s_cbranch_scc1 .LBB26_2
; %bb.1:
	s_clause 0x1
	s_load_b64 s[6:7], s[0:1], 0x10
	s_load_b64 s[8:9], s[0:1], 0x28
	s_waitcnt lgkmcnt(0)
	s_mul_i32 s5, s6, s2
	s_mul_hi_u32 s10, s6, s15
	s_mul_i32 s7, s7, s15
	s_add_i32 s5, s10, s5
	s_mul_i32 s6, s6, s15
	s_add_i32 s7, s5, s7
	s_delay_alu instid0(SALU_CYCLE_1) | instskip(NEXT) | instid1(SALU_CYCLE_1)
	s_lshl_b64 s[6:7], s[6:7], 1
	s_add_u32 s6, s8, s6
	s_addc_u32 s7, s9, s7
	s_load_b128 s[16:19], s[6:7], 0x0
	s_waitcnt lgkmcnt(0)
	s_pack_lh_b32_b16 s13, 0, s16
	s_lshl_b32 s12, s16, 16
	s_pack_lh_b32_b16 s11, 0, s17
	s_lshl_b32 s10, s17, 16
	;; [unrolled: 2-line block ×4, first 2 shown]
.LBB26_2:
	v_add_f32_e64 v4, s13, s12
	v_add_f32_e64 v5, s11, s10
	;; [unrolled: 1-line block ×4, first 2 shown]
	s_delay_alu instid0(VALU_DEP_1) | instskip(NEXT) | instid1(VALU_DEP_1)
	v_dual_add_f32 v0, v5, v4 :: v_dual_add_f32 v1, v7, v6
	v_add_f32_e32 v2, v1, v0
	s_delay_alu instid0(VALU_DEP_1) | instskip(NEXT) | instid1(VALU_DEP_1)
	v_mul_f32_e32 v2, s4, v2
	v_and_b32_e32 v3, 0x7f800000, v2
	v_readfirstlane_b32 s14, v2
	s_delay_alu instid0(VALU_DEP_2)
	v_cmp_eq_u32_e32 vcc_lo, 0x7f800000, v3
	s_cbranch_vccnz .LBB26_4
; %bb.3:
	s_delay_alu instid0(VALU_DEP_2) | instskip(NEXT) | instid1(SALU_CYCLE_1)
	s_bfe_u32 s5, s14, 0x10010
	s_add_i32 s5, s14, s5
	s_delay_alu instid0(SALU_CYCLE_1)
	s_addk_i32 s5, 0x7fff
	s_cbranch_execz .LBB26_5
	s_branch .LBB26_6
.LBB26_4:
                                        ; implicit-def: $sgpr5
.LBB26_5:
	s_delay_alu instid0(VALU_DEP_2)
	s_and_b32 s5, s14, 0xffff
	s_or_b32 s16, s14, 0x10000
	s_cmp_eq_u32 s5, 0
	s_cselect_b32 s5, s14, s16
.LBB26_6:
	v_sub_f32_e64 v8, s12, s13
	v_sub_f32_e64 v9, s10, s11
	;; [unrolled: 1-line block ×4, first 2 shown]
	s_delay_alu instid0(VALU_DEP_1) | instskip(NEXT) | instid1(VALU_DEP_1)
	v_dual_add_f32 v2, v9, v8 :: v_dual_add_f32 v3, v11, v10
	v_add_f32_e32 v12, v3, v2
	s_delay_alu instid0(VALU_DEP_1) | instskip(NEXT) | instid1(VALU_DEP_1)
	v_mul_f32_e32 v12, s4, v12
	v_and_b32_e32 v13, 0x7f800000, v12
	v_readfirstlane_b32 s7, v12
	s_delay_alu instid0(VALU_DEP_2)
	v_cmp_eq_u32_e32 vcc_lo, 0x7f800000, v13
	s_cbranch_vccnz .LBB26_8
; %bb.7:
	s_delay_alu instid0(VALU_DEP_2) | instskip(NEXT) | instid1(SALU_CYCLE_1)
	s_bfe_u32 s6, s7, 0x10010
	s_add_i32 s6, s7, s6
	s_delay_alu instid0(SALU_CYCLE_1)
	s_addk_i32 s6, 0x7fff
	s_cbranch_execz .LBB26_9
	s_branch .LBB26_10
.LBB26_8:
                                        ; implicit-def: $sgpr6
.LBB26_9:
	s_delay_alu instid0(VALU_DEP_2)
	s_and_b32 s6, s7, 0xffff
	s_or_b32 s8, s7, 0x10000
	s_cmp_eq_u32 s6, 0
	s_cselect_b32 s6, s7, s8
.LBB26_10:
	v_dual_sub_f32 v4, v4, v5 :: v_dual_sub_f32 v5, v6, v7
	s_delay_alu instid0(VALU_DEP_1) | instskip(NEXT) | instid1(VALU_DEP_1)
	v_add_f32_e32 v6, v5, v4
	v_mul_f32_e32 v6, s4, v6
	s_delay_alu instid0(VALU_DEP_1) | instskip(SKIP_1) | instid1(VALU_DEP_2)
	v_and_b32_e32 v7, 0x7f800000, v6
	v_readfirstlane_b32 s8, v6
	v_cmp_eq_u32_e32 vcc_lo, 0x7f800000, v7
	s_cbranch_vccnz .LBB26_12
; %bb.11:
	s_delay_alu instid0(VALU_DEP_2) | instskip(NEXT) | instid1(SALU_CYCLE_1)
	s_bfe_u32 s7, s8, 0x10010
	s_add_i32 s7, s8, s7
	s_delay_alu instid0(SALU_CYCLE_1)
	s_addk_i32 s7, 0x7fff
	s_cbranch_execz .LBB26_13
	s_branch .LBB26_14
.LBB26_12:
                                        ; implicit-def: $sgpr7
.LBB26_13:
	s_delay_alu instid0(VALU_DEP_2)
	s_and_b32 s7, s8, 0xffff
	s_or_b32 s9, s8, 0x10000
	s_cmp_eq_u32 s7, 0
	s_cselect_b32 s7, s8, s9
.LBB26_14:
	v_dual_sub_f32 v6, v8, v9 :: v_dual_sub_f32 v7, v10, v11
	s_delay_alu instid0(VALU_DEP_1) | instskip(NEXT) | instid1(VALU_DEP_1)
	v_add_f32_e32 v8, v7, v6
	v_mul_f32_e32 v8, s4, v8
	s_delay_alu instid0(VALU_DEP_1) | instskip(SKIP_1) | instid1(VALU_DEP_2)
	v_and_b32_e32 v9, 0x7f800000, v8
	v_readfirstlane_b32 s9, v8
	v_cmp_eq_u32_e32 vcc_lo, 0x7f800000, v9
	s_cbranch_vccnz .LBB26_16
; %bb.15:
	s_delay_alu instid0(VALU_DEP_2) | instskip(NEXT) | instid1(SALU_CYCLE_1)
	s_bfe_u32 s8, s9, 0x10010
	s_add_i32 s8, s9, s8
	s_delay_alu instid0(SALU_CYCLE_1)
	s_addk_i32 s8, 0x7fff
	s_cbranch_execz .LBB26_17
	s_branch .LBB26_18
.LBB26_16:
                                        ; implicit-def: $sgpr8
.LBB26_17:
	s_delay_alu instid0(VALU_DEP_2)
	s_and_b32 s8, s9, 0xffff
	s_or_b32 s10, s9, 0x10000
	s_cmp_eq_u32 s8, 0
	s_cselect_b32 s8, s9, s10
.LBB26_18:
	v_sub_f32_e32 v0, v0, v1
	s_delay_alu instid0(VALU_DEP_1) | instskip(NEXT) | instid1(VALU_DEP_1)
	v_mul_f32_e32 v0, s4, v0
	v_and_b32_e32 v1, 0x7f800000, v0
	v_readfirstlane_b32 s10, v0
	s_delay_alu instid0(VALU_DEP_2)
	v_cmp_eq_u32_e32 vcc_lo, 0x7f800000, v1
	s_cbranch_vccnz .LBB26_20
; %bb.19:
	s_delay_alu instid0(VALU_DEP_2) | instskip(NEXT) | instid1(SALU_CYCLE_1)
	s_bfe_u32 s9, s10, 0x10010
	s_add_i32 s9, s10, s9
	s_delay_alu instid0(SALU_CYCLE_1)
	s_addk_i32 s9, 0x7fff
	s_cbranch_execz .LBB26_21
	s_branch .LBB26_22
.LBB26_20:
                                        ; implicit-def: $sgpr9
.LBB26_21:
	s_delay_alu instid0(VALU_DEP_2)
	s_and_b32 s9, s10, 0xffff
	s_or_b32 s11, s10, 0x10000
	s_cmp_eq_u32 s9, 0
	s_cselect_b32 s9, s10, s11
.LBB26_22:
	v_sub_f32_e32 v0, v2, v3
	s_delay_alu instid0(VALU_DEP_1) | instskip(NEXT) | instid1(VALU_DEP_1)
	v_mul_f32_e32 v0, s4, v0
	v_and_b32_e32 v1, 0x7f800000, v0
	v_readfirstlane_b32 s11, v0
	s_delay_alu instid0(VALU_DEP_2)
	v_cmp_eq_u32_e32 vcc_lo, 0x7f800000, v1
	s_cbranch_vccnz .LBB26_24
; %bb.23:
	s_delay_alu instid0(VALU_DEP_2) | instskip(NEXT) | instid1(SALU_CYCLE_1)
	s_bfe_u32 s10, s11, 0x10010
	s_add_i32 s10, s11, s10
	s_delay_alu instid0(SALU_CYCLE_1)
	s_addk_i32 s10, 0x7fff
	s_cbranch_execz .LBB26_25
	s_branch .LBB26_26
.LBB26_24:
                                        ; implicit-def: $sgpr10
.LBB26_25:
	s_delay_alu instid0(VALU_DEP_2)
	s_and_b32 s10, s11, 0xffff
	s_or_b32 s12, s11, 0x10000
	s_cmp_eq_u32 s10, 0
	s_cselect_b32 s10, s11, s12
.LBB26_26:
	v_sub_f32_e32 v0, v4, v5
	s_delay_alu instid0(VALU_DEP_1) | instskip(NEXT) | instid1(VALU_DEP_1)
	v_mul_f32_e32 v0, s4, v0
	v_and_b32_e32 v1, 0x7f800000, v0
	v_readfirstlane_b32 s12, v0
	s_delay_alu instid0(VALU_DEP_2)
	v_cmp_eq_u32_e32 vcc_lo, 0x7f800000, v1
	s_cbranch_vccnz .LBB26_28
; %bb.27:
	s_delay_alu instid0(VALU_DEP_2) | instskip(NEXT) | instid1(SALU_CYCLE_1)
	s_bfe_u32 s11, s12, 0x10010
	s_add_i32 s11, s12, s11
	s_delay_alu instid0(SALU_CYCLE_1)
	s_addk_i32 s11, 0x7fff
	s_cbranch_execz .LBB26_29
	s_branch .LBB26_30
.LBB26_28:
                                        ; implicit-def: $sgpr11
.LBB26_29:
	s_delay_alu instid0(VALU_DEP_2)
	s_and_b32 s11, s12, 0xffff
	s_or_b32 s13, s12, 0x10000
	s_cmp_eq_u32 s11, 0
	s_cselect_b32 s11, s12, s13
.LBB26_30:
	v_sub_f32_e32 v0, v6, v7
	s_delay_alu instid0(VALU_DEP_1) | instskip(NEXT) | instid1(VALU_DEP_1)
	v_mul_f32_e32 v0, s4, v0
	v_and_b32_e32 v1, 0x7f800000, v0
	v_readfirstlane_b32 s12, v0
	s_delay_alu instid0(VALU_DEP_2)
	v_cmp_eq_u32_e32 vcc_lo, 0x7f800000, v1
	s_cbranch_vccnz .LBB26_32
; %bb.31:
	s_delay_alu instid0(VALU_DEP_2) | instskip(NEXT) | instid1(SALU_CYCLE_1)
	s_bfe_u32 s4, s12, 0x10010
	s_add_i32 s4, s12, s4
	s_delay_alu instid0(SALU_CYCLE_1)
	s_addk_i32 s4, 0x7fff
	s_cbranch_execz .LBB26_33
	s_branch .LBB26_34
.LBB26_32:
                                        ; implicit-def: $sgpr4
.LBB26_33:
	s_delay_alu instid0(VALU_DEP_2)
	s_and_b32 s4, s12, 0xffff
	s_or_b32 s13, s12, 0x10000
	s_cmp_eq_u32 s4, 0
	s_cselect_b32 s4, s12, s13
.LBB26_34:
	s_and_not1_b32 vcc_lo, exec_lo, s3
	s_cbranch_vccz .LBB26_36
; %bb.35:
	s_endpgm
.LBB26_36:
	s_clause 0x1
	s_load_b64 s[12:13], s[0:1], 0x18
	s_load_b64 s[0:1], s[0:1], 0x30
	s_pack_hh_b32_b16 s3, s5, s6
	s_pack_hh_b32_b16 s4, s11, s4
	;; [unrolled: 1-line block ×3, first 2 shown]
	v_dual_mov_b32 v0, s3 :: v_dual_mov_b32 v3, s4
	v_dual_mov_b32 v4, 0 :: v_dual_mov_b32 v1, s5
	s_pack_hh_b32_b16 s9, s9, s10
	s_delay_alu instid0(SALU_CYCLE_1)
	v_mov_b32_e32 v2, s9
	s_waitcnt lgkmcnt(0)
	s_mul_i32 s2, s12, s2
	s_mul_hi_u32 s3, s12, s15
	s_mul_i32 s5, s13, s15
	s_add_i32 s3, s3, s2
	s_mul_i32 s2, s12, s15
	s_add_i32 s3, s3, s5
	s_delay_alu instid0(SALU_CYCLE_1) | instskip(NEXT) | instid1(SALU_CYCLE_1)
	s_lshl_b64 s[2:3], s[2:3], 1
	s_add_u32 s0, s0, s2
	s_addc_u32 s1, s1, s3
	global_store_b128 v4, v[0:3], s[0:1]
	s_nop 0
	s_sendmsg sendmsg(MSG_DEALLOC_VGPRS)
	s_endpgm
	.section	.rodata,"a",@progbits
	.p2align	6, 0x0
	.amdhsa_kernel _Z30fast_hadamard_transform_kernelI37fast_hadamard_transform_kernel_traitsILi1ELi3E14__hip_bfloat16EEv18HadamardParamsBase
		.amdhsa_group_segment_fixed_size 0
		.amdhsa_private_segment_fixed_size 0
		.amdhsa_kernarg_size 56
		.amdhsa_user_sgpr_count 15
		.amdhsa_user_sgpr_dispatch_ptr 0
		.amdhsa_user_sgpr_queue_ptr 0
		.amdhsa_user_sgpr_kernarg_segment_ptr 1
		.amdhsa_user_sgpr_dispatch_id 0
		.amdhsa_user_sgpr_private_segment_size 0
		.amdhsa_wavefront_size32 1
		.amdhsa_uses_dynamic_stack 0
		.amdhsa_enable_private_segment 0
		.amdhsa_system_sgpr_workgroup_id_x 1
		.amdhsa_system_sgpr_workgroup_id_y 0
		.amdhsa_system_sgpr_workgroup_id_z 0
		.amdhsa_system_sgpr_workgroup_info 0
		.amdhsa_system_vgpr_workitem_id 0
		.amdhsa_next_free_vgpr 14
		.amdhsa_next_free_sgpr 20
		.amdhsa_reserve_vcc 1
		.amdhsa_float_round_mode_32 0
		.amdhsa_float_round_mode_16_64 0
		.amdhsa_float_denorm_mode_32 3
		.amdhsa_float_denorm_mode_16_64 3
		.amdhsa_dx10_clamp 1
		.amdhsa_ieee_mode 1
		.amdhsa_fp16_overflow 0
		.amdhsa_workgroup_processor_mode 1
		.amdhsa_memory_ordered 1
		.amdhsa_forward_progress 0
		.amdhsa_shared_vgpr_count 0
		.amdhsa_exception_fp_ieee_invalid_op 0
		.amdhsa_exception_fp_denorm_src 0
		.amdhsa_exception_fp_ieee_div_zero 0
		.amdhsa_exception_fp_ieee_overflow 0
		.amdhsa_exception_fp_ieee_underflow 0
		.amdhsa_exception_fp_ieee_inexact 0
		.amdhsa_exception_int_div_zero 0
	.end_amdhsa_kernel
	.section	.text._Z30fast_hadamard_transform_kernelI37fast_hadamard_transform_kernel_traitsILi1ELi3E14__hip_bfloat16EEv18HadamardParamsBase,"axG",@progbits,_Z30fast_hadamard_transform_kernelI37fast_hadamard_transform_kernel_traitsILi1ELi3E14__hip_bfloat16EEv18HadamardParamsBase,comdat
.Lfunc_end26:
	.size	_Z30fast_hadamard_transform_kernelI37fast_hadamard_transform_kernel_traitsILi1ELi3E14__hip_bfloat16EEv18HadamardParamsBase, .Lfunc_end26-_Z30fast_hadamard_transform_kernelI37fast_hadamard_transform_kernel_traitsILi1ELi3E14__hip_bfloat16EEv18HadamardParamsBase
                                        ; -- End function
	.section	.AMDGPU.csdata,"",@progbits
; Kernel info:
; codeLenInByte = 1224
; NumSgprs: 22
; NumVgprs: 14
; ScratchSize: 0
; MemoryBound: 0
; FloatMode: 240
; IeeeMode: 1
; LDSByteSize: 0 bytes/workgroup (compile time only)
; SGPRBlocks: 2
; VGPRBlocks: 1
; NumSGPRsForWavesPerEU: 22
; NumVGPRsForWavesPerEU: 14
; Occupancy: 16
; WaveLimiterHint : 0
; COMPUTE_PGM_RSRC2:SCRATCH_EN: 0
; COMPUTE_PGM_RSRC2:USER_SGPR: 15
; COMPUTE_PGM_RSRC2:TRAP_HANDLER: 0
; COMPUTE_PGM_RSRC2:TGID_X_EN: 1
; COMPUTE_PGM_RSRC2:TGID_Y_EN: 0
; COMPUTE_PGM_RSRC2:TGID_Z_EN: 0
; COMPUTE_PGM_RSRC2:TIDIG_COMP_CNT: 0
	.section	.text._Z30fast_hadamard_transform_kernelI37fast_hadamard_transform_kernel_traitsILi2ELi4E14__hip_bfloat16EEv18HadamardParamsBase,"axG",@progbits,_Z30fast_hadamard_transform_kernelI37fast_hadamard_transform_kernel_traitsILi2ELi4E14__hip_bfloat16EEv18HadamardParamsBase,comdat
	.protected	_Z30fast_hadamard_transform_kernelI37fast_hadamard_transform_kernel_traitsILi2ELi4E14__hip_bfloat16EEv18HadamardParamsBase ; -- Begin function _Z30fast_hadamard_transform_kernelI37fast_hadamard_transform_kernel_traitsILi2ELi4E14__hip_bfloat16EEv18HadamardParamsBase
	.globl	_Z30fast_hadamard_transform_kernelI37fast_hadamard_transform_kernel_traitsILi2ELi4E14__hip_bfloat16EEv18HadamardParamsBase
	.p2align	8
	.type	_Z30fast_hadamard_transform_kernelI37fast_hadamard_transform_kernel_traitsILi2ELi4E14__hip_bfloat16EEv18HadamardParamsBase,@function
_Z30fast_hadamard_transform_kernelI37fast_hadamard_transform_kernel_traitsILi2ELi4E14__hip_bfloat16EEv18HadamardParamsBase: ; @_Z30fast_hadamard_transform_kernelI37fast_hadamard_transform_kernel_traitsILi2ELi4E14__hip_bfloat16EEv18HadamardParamsBase
; %bb.0:
	s_clause 0x1
	s_load_b32 s2, s[0:1], 0x4
	s_load_b32 s5, s[0:1], 0x20
	v_dual_mov_b32 v6, 0 :: v_dual_lshlrev_b32 v9, 3, v0
	v_dual_mov_b32 v2, 0 :: v_dual_mov_b32 v3, 0
	v_dual_mov_b32 v4, 0 :: v_dual_mov_b32 v5, 0
	;; [unrolled: 1-line block ×3, first 2 shown]
	v_lshlrev_b32_e32 v1, 4, v0
	s_ashr_i32 s4, s15, 31
	s_waitcnt lgkmcnt(0)
	v_cmp_gt_u32_e32 vcc_lo, s2, v9
	v_mov_b32_e32 v9, 0
	s_and_saveexec_b32 s2, vcc_lo
	s_cbranch_execz .LBB27_2
; %bb.1:
	s_clause 0x1
	s_load_b64 s[6:7], s[0:1], 0x10
	s_load_b64 s[8:9], s[0:1], 0x28
	s_waitcnt lgkmcnt(0)
	s_mul_i32 s3, s6, s4
	s_mul_hi_u32 s10, s6, s15
	s_mul_i32 s7, s7, s15
	s_add_i32 s3, s10, s3
	s_mul_i32 s6, s6, s15
	s_add_i32 s7, s3, s7
	s_delay_alu instid0(SALU_CYCLE_1) | instskip(NEXT) | instid1(SALU_CYCLE_1)
	s_lshl_b64 s[6:7], s[6:7], 1
	s_add_u32 s6, s8, s6
	s_addc_u32 s7, s9, s7
	global_load_b128 v[10:13], v1, s[6:7]
	s_waitcnt vmcnt(0)
	v_and_b32_e32 v9, 0xffff0000, v10
	v_lshlrev_b32_e32 v8, 16, v10
	v_and_b32_e32 v7, 0xffff0000, v11
	v_lshlrev_b32_e32 v6, 16, v11
	;; [unrolled: 2-line block ×4, first 2 shown]
.LBB27_2:
	s_or_b32 exec_lo, exec_lo, s2
	v_mbcnt_lo_u32_b32 v10, -1, 0
	v_dual_add_f32 v11, v9, v8 :: v_dual_add_f32 v12, v7, v6
	s_delay_alu instid0(VALU_DEP_3) | instskip(NEXT) | instid1(VALU_DEP_3)
	v_dual_add_f32 v13, v5, v4 :: v_dual_add_f32 v14, v3, v2
	v_xor_b32_e32 v15, 1, v10
	v_sub_f32_e32 v6, v6, v7
	s_delay_alu instid0(VALU_DEP_3) | instskip(NEXT) | instid1(VALU_DEP_3)
	v_dual_add_f32 v16, v12, v11 :: v_dual_add_f32 v17, v14, v13
	v_cmp_gt_i32_e64 s2, 32, v15
	v_sub_f32_e32 v8, v8, v9
	v_dual_sub_f32 v2, v2, v3 :: v_dual_sub_f32 v3, v11, v12
	s_delay_alu instid0(VALU_DEP_4) | instskip(NEXT) | instid1(VALU_DEP_4)
	v_sub_f32_e32 v11, v16, v17
	v_cndmask_b32_e64 v10, v10, v15, s2
	v_dual_add_f32 v7, v17, v16 :: v_dual_sub_f32 v4, v4, v5
	v_add_f32_e32 v5, v6, v8
	v_cmp_eq_u32_e64 s2, 0, v0
	s_delay_alu instid0(VALU_DEP_3)
	v_dual_add_f32 v9, v2, v4 :: v_dual_lshlrev_b32 v18, 2, v10
	v_sub_f32_e32 v10, v8, v6
	v_sub_f32_e32 v4, v4, v2
	ds_bpermute_b32 v19, v18, v7
	v_cndmask_b32_e64 v0, -v7, v7, s2
	v_add_f32_e32 v2, v9, v5
	v_sub_f32_e32 v9, v5, v9
	v_sub_f32_e32 v6, v13, v14
	ds_bpermute_b32 v12, v18, v11
	ds_bpermute_b32 v15, v18, v2
	v_dual_add_f32 v5, v6, v3 :: v_dual_sub_f32 v6, v3, v6
	v_dual_sub_f32 v3, v10, v4 :: v_dual_add_f32 v8, v4, v10
	ds_bpermute_b32 v10, v18, v9
	ds_bpermute_b32 v14, v18, v5
	;; [unrolled: 1-line block ×5, first 2 shown]
	s_waitcnt lgkmcnt(7)
	v_add_f32_e32 v0, v0, v19
	s_delay_alu instid0(VALU_DEP_1) | instskip(NEXT) | instid1(VALU_DEP_1)
	v_mul_f32_e32 v16, s5, v0
	v_and_b32_e32 v0, 0x7f800000, v16
	s_delay_alu instid0(VALU_DEP_1) | instskip(NEXT) | instid1(VALU_DEP_1)
	v_cmp_ne_u32_e64 s3, 0x7f800000, v0
                                        ; implicit-def: $vgpr0
	s_and_saveexec_b32 s6, s3
	s_delay_alu instid0(SALU_CYCLE_1)
	s_xor_b32 s3, exec_lo, s6
; %bb.3:
	v_bfe_u32 v0, v16, 16, 1
	s_delay_alu instid0(VALU_DEP_1)
	v_add3_u32 v0, v16, v0, 0x7fff
                                        ; implicit-def: $vgpr16
; %bb.4:
	s_and_not1_saveexec_b32 s6, s3
; %bb.5:
	v_and_b32_e32 v0, 0xffff, v16
	v_or_b32_e32 v17, 0x10000, v16
	s_delay_alu instid0(VALU_DEP_2) | instskip(NEXT) | instid1(VALU_DEP_1)
	v_cmp_eq_u32_e64 s3, 0, v0
	v_cndmask_b32_e64 v0, v17, v16, s3
; %bb.6:
	s_or_b32 exec_lo, exec_lo, s6
	v_cndmask_b32_e64 v2, -v2, v2, s2
	s_waitcnt lgkmcnt(5)
	s_delay_alu instid0(VALU_DEP_1) | instskip(NEXT) | instid1(VALU_DEP_1)
	v_add_f32_e32 v2, v2, v15
	v_mul_f32_e32 v15, s5, v2
	s_delay_alu instid0(VALU_DEP_1) | instskip(NEXT) | instid1(VALU_DEP_1)
	v_and_b32_e32 v2, 0x7f800000, v15
	v_cmp_ne_u32_e64 s3, 0x7f800000, v2
                                        ; implicit-def: $vgpr2
	s_delay_alu instid0(VALU_DEP_1) | instskip(NEXT) | instid1(SALU_CYCLE_1)
	s_and_saveexec_b32 s6, s3
	s_xor_b32 s3, exec_lo, s6
; %bb.7:
	v_bfe_u32 v2, v15, 16, 1
	s_delay_alu instid0(VALU_DEP_1)
	v_add3_u32 v2, v15, v2, 0x7fff
                                        ; implicit-def: $vgpr15
; %bb.8:
	s_and_not1_saveexec_b32 s6, s3
; %bb.9:
	v_and_b32_e32 v2, 0xffff, v15
	v_or_b32_e32 v16, 0x10000, v15
	s_delay_alu instid0(VALU_DEP_2) | instskip(NEXT) | instid1(VALU_DEP_1)
	v_cmp_eq_u32_e64 s3, 0, v2
	v_cndmask_b32_e64 v2, v16, v15, s3
; %bb.10:
	s_or_b32 exec_lo, exec_lo, s6
	v_cndmask_b32_e64 v5, -v5, v5, s2
	s_waitcnt lgkmcnt(3)
	s_delay_alu instid0(VALU_DEP_1) | instskip(NEXT) | instid1(VALU_DEP_1)
	v_add_f32_e32 v5, v5, v14
	v_mul_f32_e32 v14, s5, v5
	s_delay_alu instid0(VALU_DEP_1) | instskip(NEXT) | instid1(VALU_DEP_1)
	v_and_b32_e32 v5, 0x7f800000, v14
	v_cmp_ne_u32_e64 s3, 0x7f800000, v5
                                        ; implicit-def: $vgpr5
	s_delay_alu instid0(VALU_DEP_1) | instskip(NEXT) | instid1(SALU_CYCLE_1)
	s_and_saveexec_b32 s6, s3
	s_xor_b32 s3, exec_lo, s6
; %bb.11:
	v_bfe_u32 v5, v14, 16, 1
	s_delay_alu instid0(VALU_DEP_1)
	v_add3_u32 v5, v14, v5, 0x7fff
                                        ; implicit-def: $vgpr14
; %bb.12:
	s_and_not1_saveexec_b32 s6, s3
; %bb.13:
	v_and_b32_e32 v5, 0xffff, v14
	v_or_b32_e32 v15, 0x10000, v14
	s_delay_alu instid0(VALU_DEP_2) | instskip(NEXT) | instid1(VALU_DEP_1)
	v_cmp_eq_u32_e64 s3, 0, v5
	v_cndmask_b32_e64 v5, v15, v14, s3
; %bb.14:
	s_or_b32 exec_lo, exec_lo, s6
	v_cndmask_b32_e64 v8, -v8, v8, s2
	s_waitcnt lgkmcnt(0)
	s_delay_alu instid0(VALU_DEP_1) | instskip(NEXT) | instid1(VALU_DEP_1)
	v_add_f32_e32 v8, v8, v13
	v_mul_f32_e32 v13, s5, v8
	s_delay_alu instid0(VALU_DEP_1) | instskip(NEXT) | instid1(VALU_DEP_1)
	v_and_b32_e32 v8, 0x7f800000, v13
	v_cmp_ne_u32_e64 s3, 0x7f800000, v8
                                        ; implicit-def: $vgpr8
	s_delay_alu instid0(VALU_DEP_1) | instskip(NEXT) | instid1(SALU_CYCLE_1)
	s_and_saveexec_b32 s6, s3
	s_xor_b32 s3, exec_lo, s6
; %bb.15:
	v_bfe_u32 v8, v13, 16, 1
	s_delay_alu instid0(VALU_DEP_1)
	v_add3_u32 v8, v13, v8, 0x7fff
                                        ; implicit-def: $vgpr13
; %bb.16:
	s_and_not1_saveexec_b32 s6, s3
; %bb.17:
	v_and_b32_e32 v8, 0xffff, v13
	v_or_b32_e32 v14, 0x10000, v13
	s_delay_alu instid0(VALU_DEP_2) | instskip(NEXT) | instid1(VALU_DEP_1)
	v_cmp_eq_u32_e64 s3, 0, v8
	v_cndmask_b32_e64 v8, v14, v13, s3
; %bb.18:
	s_or_b32 exec_lo, exec_lo, s6
	v_cndmask_b32_e64 v11, -v11, v11, s2
	s_delay_alu instid0(VALU_DEP_1) | instskip(NEXT) | instid1(VALU_DEP_1)
	v_add_f32_e32 v11, v11, v12
	v_mul_f32_e32 v12, s5, v11
	s_delay_alu instid0(VALU_DEP_1) | instskip(NEXT) | instid1(VALU_DEP_1)
	v_and_b32_e32 v11, 0x7f800000, v12
	v_cmp_ne_u32_e64 s3, 0x7f800000, v11
                                        ; implicit-def: $vgpr11
	s_delay_alu instid0(VALU_DEP_1) | instskip(NEXT) | instid1(SALU_CYCLE_1)
	s_and_saveexec_b32 s6, s3
	s_xor_b32 s3, exec_lo, s6
; %bb.19:
	v_bfe_u32 v11, v12, 16, 1
	s_delay_alu instid0(VALU_DEP_1)
	v_add3_u32 v11, v12, v11, 0x7fff
                                        ; implicit-def: $vgpr12
; %bb.20:
	s_and_not1_saveexec_b32 s6, s3
; %bb.21:
	v_and_b32_e32 v11, 0xffff, v12
	v_or_b32_e32 v13, 0x10000, v12
	s_delay_alu instid0(VALU_DEP_2) | instskip(NEXT) | instid1(VALU_DEP_1)
	v_cmp_eq_u32_e64 s3, 0, v11
	v_cndmask_b32_e64 v11, v13, v12, s3
; %bb.22:
	s_or_b32 exec_lo, exec_lo, s6
	v_cndmask_b32_e64 v9, -v9, v9, s2
	s_delay_alu instid0(VALU_DEP_1) | instskip(NEXT) | instid1(VALU_DEP_1)
	v_add_f32_e32 v9, v9, v10
	v_mul_f32_e32 v10, s5, v9
	s_delay_alu instid0(VALU_DEP_1) | instskip(NEXT) | instid1(VALU_DEP_1)
	v_and_b32_e32 v9, 0x7f800000, v10
	v_cmp_ne_u32_e64 s3, 0x7f800000, v9
                                        ; implicit-def: $vgpr9
	s_delay_alu instid0(VALU_DEP_1) | instskip(NEXT) | instid1(SALU_CYCLE_1)
	s_and_saveexec_b32 s6, s3
	s_xor_b32 s3, exec_lo, s6
; %bb.23:
	v_bfe_u32 v9, v10, 16, 1
	s_delay_alu instid0(VALU_DEP_1)
	v_add3_u32 v9, v10, v9, 0x7fff
                                        ; implicit-def: $vgpr10
; %bb.24:
	s_and_not1_saveexec_b32 s6, s3
; %bb.25:
	v_and_b32_e32 v9, 0xffff, v10
	v_or_b32_e32 v12, 0x10000, v10
	s_delay_alu instid0(VALU_DEP_2) | instskip(NEXT) | instid1(VALU_DEP_1)
	v_cmp_eq_u32_e64 s3, 0, v9
	v_cndmask_b32_e64 v9, v12, v10, s3
; %bb.26:
	s_or_b32 exec_lo, exec_lo, s6
	v_cndmask_b32_e64 v6, -v6, v6, s2
	s_delay_alu instid0(VALU_DEP_1) | instskip(NEXT) | instid1(VALU_DEP_1)
	v_add_f32_e32 v6, v6, v7
	v_mul_f32_e32 v7, s5, v6
	s_delay_alu instid0(VALU_DEP_1) | instskip(NEXT) | instid1(VALU_DEP_1)
	v_and_b32_e32 v6, 0x7f800000, v7
	v_cmp_ne_u32_e64 s3, 0x7f800000, v6
                                        ; implicit-def: $vgpr6
	s_delay_alu instid0(VALU_DEP_1) | instskip(NEXT) | instid1(SALU_CYCLE_1)
	s_and_saveexec_b32 s6, s3
	s_xor_b32 s3, exec_lo, s6
; %bb.27:
	v_bfe_u32 v6, v7, 16, 1
	s_delay_alu instid0(VALU_DEP_1)
	v_add3_u32 v6, v7, v6, 0x7fff
                                        ; implicit-def: $vgpr7
; %bb.28:
	s_and_not1_saveexec_b32 s6, s3
; %bb.29:
	v_and_b32_e32 v6, 0xffff, v7
	v_or_b32_e32 v10, 0x10000, v7
	s_delay_alu instid0(VALU_DEP_2) | instskip(NEXT) | instid1(VALU_DEP_1)
	v_cmp_eq_u32_e64 s3, 0, v6
	v_cndmask_b32_e64 v6, v10, v7, s3
; %bb.30:
	s_or_b32 exec_lo, exec_lo, s6
	v_cndmask_b32_e64 v3, -v3, v3, s2
	s_delay_alu instid0(VALU_DEP_1) | instskip(NEXT) | instid1(VALU_DEP_1)
	v_add_f32_e32 v3, v3, v4
	v_mul_f32_e32 v4, s5, v3
	s_delay_alu instid0(VALU_DEP_1) | instskip(NEXT) | instid1(VALU_DEP_1)
	v_and_b32_e32 v3, 0x7f800000, v4
	v_cmp_ne_u32_e64 s2, 0x7f800000, v3
                                        ; implicit-def: $vgpr3
	s_delay_alu instid0(VALU_DEP_1) | instskip(NEXT) | instid1(SALU_CYCLE_1)
	s_and_saveexec_b32 s3, s2
	s_xor_b32 s2, exec_lo, s3
	s_cbranch_execnz .LBB27_34
; %bb.31:
	s_and_not1_saveexec_b32 s3, s2
	s_cbranch_execnz .LBB27_35
.LBB27_32:
	s_or_b32 exec_lo, exec_lo, s3
	s_and_saveexec_b32 s2, vcc_lo
	s_cbranch_execnz .LBB27_36
.LBB27_33:
	s_endpgm
.LBB27_34:
	v_bfe_u32 v3, v4, 16, 1
	s_delay_alu instid0(VALU_DEP_1)
	v_add3_u32 v3, v4, v3, 0x7fff
                                        ; implicit-def: $vgpr4
	s_and_not1_saveexec_b32 s3, s2
	s_cbranch_execz .LBB27_32
.LBB27_35:
	v_and_b32_e32 v3, 0xffff, v4
	v_or_b32_e32 v7, 0x10000, v4
	s_delay_alu instid0(VALU_DEP_2) | instskip(NEXT) | instid1(VALU_DEP_1)
	v_cmp_eq_u32_e64 s2, 0, v3
	v_cndmask_b32_e64 v3, v7, v4, s2
	s_or_b32 exec_lo, exec_lo, s3
	s_and_saveexec_b32 s2, vcc_lo
	s_cbranch_execz .LBB27_33
.LBB27_36:
	s_clause 0x1
	s_load_b64 s[2:3], s[0:1], 0x18
	s_load_b64 s[0:1], s[0:1], 0x30
	v_perm_b32 v7, v3, v6, 0x7060302
	v_perm_b32 v6, v9, v11, 0x7060302
	v_perm_b32 v5, v8, v5, 0x7060302
	v_perm_b32 v4, v2, v0, 0x7060302
	s_waitcnt lgkmcnt(0)
	s_mul_i32 s4, s2, s4
	s_mul_hi_u32 s5, s2, s15
	s_mul_i32 s3, s3, s15
	s_add_i32 s4, s5, s4
	s_mul_i32 s2, s2, s15
	s_add_i32 s3, s4, s3
	s_delay_alu instid0(SALU_CYCLE_1) | instskip(NEXT) | instid1(SALU_CYCLE_1)
	s_lshl_b64 s[2:3], s[2:3], 1
	s_add_u32 s0, s0, s2
	s_addc_u32 s1, s1, s3
	global_store_b128 v1, v[4:7], s[0:1]
	s_nop 0
	s_sendmsg sendmsg(MSG_DEALLOC_VGPRS)
	s_endpgm
	.section	.rodata,"a",@progbits
	.p2align	6, 0x0
	.amdhsa_kernel _Z30fast_hadamard_transform_kernelI37fast_hadamard_transform_kernel_traitsILi2ELi4E14__hip_bfloat16EEv18HadamardParamsBase
		.amdhsa_group_segment_fixed_size 0
		.amdhsa_private_segment_fixed_size 0
		.amdhsa_kernarg_size 56
		.amdhsa_user_sgpr_count 15
		.amdhsa_user_sgpr_dispatch_ptr 0
		.amdhsa_user_sgpr_queue_ptr 0
		.amdhsa_user_sgpr_kernarg_segment_ptr 1
		.amdhsa_user_sgpr_dispatch_id 0
		.amdhsa_user_sgpr_private_segment_size 0
		.amdhsa_wavefront_size32 1
		.amdhsa_uses_dynamic_stack 0
		.amdhsa_enable_private_segment 0
		.amdhsa_system_sgpr_workgroup_id_x 1
		.amdhsa_system_sgpr_workgroup_id_y 0
		.amdhsa_system_sgpr_workgroup_id_z 0
		.amdhsa_system_sgpr_workgroup_info 0
		.amdhsa_system_vgpr_workitem_id 0
		.amdhsa_next_free_vgpr 20
		.amdhsa_next_free_sgpr 16
		.amdhsa_reserve_vcc 1
		.amdhsa_float_round_mode_32 0
		.amdhsa_float_round_mode_16_64 0
		.amdhsa_float_denorm_mode_32 3
		.amdhsa_float_denorm_mode_16_64 3
		.amdhsa_dx10_clamp 1
		.amdhsa_ieee_mode 1
		.amdhsa_fp16_overflow 0
		.amdhsa_workgroup_processor_mode 1
		.amdhsa_memory_ordered 1
		.amdhsa_forward_progress 0
		.amdhsa_shared_vgpr_count 0
		.amdhsa_exception_fp_ieee_invalid_op 0
		.amdhsa_exception_fp_denorm_src 0
		.amdhsa_exception_fp_ieee_div_zero 0
		.amdhsa_exception_fp_ieee_overflow 0
		.amdhsa_exception_fp_ieee_underflow 0
		.amdhsa_exception_fp_ieee_inexact 0
		.amdhsa_exception_int_div_zero 0
	.end_amdhsa_kernel
	.section	.text._Z30fast_hadamard_transform_kernelI37fast_hadamard_transform_kernel_traitsILi2ELi4E14__hip_bfloat16EEv18HadamardParamsBase,"axG",@progbits,_Z30fast_hadamard_transform_kernelI37fast_hadamard_transform_kernel_traitsILi2ELi4E14__hip_bfloat16EEv18HadamardParamsBase,comdat
.Lfunc_end27:
	.size	_Z30fast_hadamard_transform_kernelI37fast_hadamard_transform_kernel_traitsILi2ELi4E14__hip_bfloat16EEv18HadamardParamsBase, .Lfunc_end27-_Z30fast_hadamard_transform_kernelI37fast_hadamard_transform_kernel_traitsILi2ELi4E14__hip_bfloat16EEv18HadamardParamsBase
                                        ; -- End function
	.section	.AMDGPU.csdata,"",@progbits
; Kernel info:
; codeLenInByte = 1604
; NumSgprs: 18
; NumVgprs: 20
; ScratchSize: 0
; MemoryBound: 0
; FloatMode: 240
; IeeeMode: 1
; LDSByteSize: 0 bytes/workgroup (compile time only)
; SGPRBlocks: 2
; VGPRBlocks: 2
; NumSGPRsForWavesPerEU: 18
; NumVGPRsForWavesPerEU: 20
; Occupancy: 16
; WaveLimiterHint : 0
; COMPUTE_PGM_RSRC2:SCRATCH_EN: 0
; COMPUTE_PGM_RSRC2:USER_SGPR: 15
; COMPUTE_PGM_RSRC2:TRAP_HANDLER: 0
; COMPUTE_PGM_RSRC2:TGID_X_EN: 1
; COMPUTE_PGM_RSRC2:TGID_Y_EN: 0
; COMPUTE_PGM_RSRC2:TGID_Z_EN: 0
; COMPUTE_PGM_RSRC2:TIDIG_COMP_CNT: 0
	.section	.text._Z30fast_hadamard_transform_kernelI37fast_hadamard_transform_kernel_traitsILi4ELi5E14__hip_bfloat16EEv18HadamardParamsBase,"axG",@progbits,_Z30fast_hadamard_transform_kernelI37fast_hadamard_transform_kernel_traitsILi4ELi5E14__hip_bfloat16EEv18HadamardParamsBase,comdat
	.protected	_Z30fast_hadamard_transform_kernelI37fast_hadamard_transform_kernel_traitsILi4ELi5E14__hip_bfloat16EEv18HadamardParamsBase ; -- Begin function _Z30fast_hadamard_transform_kernelI37fast_hadamard_transform_kernel_traitsILi4ELi5E14__hip_bfloat16EEv18HadamardParamsBase
	.globl	_Z30fast_hadamard_transform_kernelI37fast_hadamard_transform_kernel_traitsILi4ELi5E14__hip_bfloat16EEv18HadamardParamsBase
	.p2align	8
	.type	_Z30fast_hadamard_transform_kernelI37fast_hadamard_transform_kernel_traitsILi4ELi5E14__hip_bfloat16EEv18HadamardParamsBase,@function
_Z30fast_hadamard_transform_kernelI37fast_hadamard_transform_kernel_traitsILi4ELi5E14__hip_bfloat16EEv18HadamardParamsBase: ; @_Z30fast_hadamard_transform_kernelI37fast_hadamard_transform_kernel_traitsILi4ELi5E14__hip_bfloat16EEv18HadamardParamsBase
; %bb.0:
	s_clause 0x1
	s_load_b32 s2, s[0:1], 0x4
	s_load_b32 s5, s[0:1], 0x20
	v_dual_mov_b32 v6, 0 :: v_dual_lshlrev_b32 v9, 3, v0
	v_dual_mov_b32 v2, 0 :: v_dual_mov_b32 v3, 0
	v_dual_mov_b32 v4, 0 :: v_dual_mov_b32 v5, 0
	;; [unrolled: 1-line block ×3, first 2 shown]
	v_lshlrev_b32_e32 v1, 4, v0
	s_ashr_i32 s4, s15, 31
	s_waitcnt lgkmcnt(0)
	v_cmp_gt_u32_e32 vcc_lo, s2, v9
	v_mov_b32_e32 v9, 0
	s_and_saveexec_b32 s2, vcc_lo
	s_cbranch_execz .LBB28_2
; %bb.1:
	s_clause 0x1
	s_load_b64 s[6:7], s[0:1], 0x10
	s_load_b64 s[8:9], s[0:1], 0x28
	s_waitcnt lgkmcnt(0)
	s_mul_i32 s3, s6, s4
	s_mul_hi_u32 s10, s6, s15
	s_mul_i32 s7, s7, s15
	s_add_i32 s3, s10, s3
	s_mul_i32 s6, s6, s15
	s_add_i32 s7, s3, s7
	s_delay_alu instid0(SALU_CYCLE_1) | instskip(NEXT) | instid1(SALU_CYCLE_1)
	s_lshl_b64 s[6:7], s[6:7], 1
	s_add_u32 s6, s8, s6
	s_addc_u32 s7, s9, s7
	global_load_b128 v[10:13], v1, s[6:7]
	s_waitcnt vmcnt(0)
	v_and_b32_e32 v9, 0xffff0000, v10
	v_lshlrev_b32_e32 v8, 16, v10
	v_and_b32_e32 v7, 0xffff0000, v11
	v_lshlrev_b32_e32 v6, 16, v11
	;; [unrolled: 2-line block ×4, first 2 shown]
.LBB28_2:
	s_or_b32 exec_lo, exec_lo, s2
	v_mbcnt_lo_u32_b32 v10, -1, 0
	v_dual_add_f32 v11, v9, v8 :: v_dual_add_f32 v12, v7, v6
	s_delay_alu instid0(VALU_DEP_3) | instskip(NEXT) | instid1(VALU_DEP_3)
	v_dual_add_f32 v13, v5, v4 :: v_dual_add_f32 v14, v3, v2
	v_xor_b32_e32 v15, 1, v10
	v_sub_f32_e32 v8, v8, v9
	v_sub_f32_e32 v6, v6, v7
	v_dual_sub_f32 v2, v2, v3 :: v_dual_sub_f32 v3, v11, v12
	s_delay_alu instid0(VALU_DEP_4) | instskip(SKIP_3) | instid1(VALU_DEP_4)
	v_cmp_gt_i32_e64 s2, 32, v15
	v_add_f32_e32 v9, v14, v13
	v_sub_f32_e32 v13, v13, v14
	v_dual_add_f32 v7, v12, v11 :: v_dual_add_f32 v12, v6, v8
	v_cndmask_b32_e64 v15, v10, v15, s2
	v_sub_f32_e32 v6, v8, v6
	s_delay_alu instid0(VALU_DEP_3) | instskip(NEXT) | instid1(VALU_DEP_1)
	v_dual_sub_f32 v4, v4, v5 :: v_dual_add_f32 v5, v9, v7
	v_dual_add_f32 v8, v2, v4 :: v_dual_lshlrev_b32 v11, 2, v15
	v_sub_f32_e32 v2, v4, v2
	v_dual_sub_f32 v4, v7, v9 :: v_dual_add_f32 v9, v13, v3
	ds_bpermute_b32 v14, v11, v5
	v_add_f32_e32 v7, v8, v12
	v_dual_sub_f32 v8, v12, v8 :: v_dual_sub_f32 v3, v3, v13
	ds_bpermute_b32 v15, v11, v9
	v_dual_add_f32 v13, v2, v6 :: v_dual_and_b32 v12, 1, v0
	ds_bpermute_b32 v16, v11, v4
	ds_bpermute_b32 v17, v11, v8
	v_cmp_eq_u32_e64 s2, 0, v12
	ds_bpermute_b32 v12, v11, v7
	v_cndmask_b32_e64 v4, -v4, v4, s2
	v_sub_f32_e32 v2, v6, v2
	v_xor_b32_e32 v6, 2, v10
	v_cndmask_b32_e64 v5, -v5, v5, s2
	ds_bpermute_b32 v19, v11, v2
	v_cmp_gt_i32_e64 s3, 32, v6
	s_waitcnt lgkmcnt(5)
	v_add_f32_e32 v14, v5, v14
	v_cndmask_b32_e64 v5, -v7, v7, s2
	v_cndmask_b32_e64 v7, -v9, v9, s2
	;; [unrolled: 1-line block ×3, first 2 shown]
	v_cndmask_b32_e64 v6, v10, v6, s3
	ds_bpermute_b32 v10, v11, v13
	v_cndmask_b32_e64 v13, -v8, v8, s2
	v_lshlrev_b32_e32 v18, 2, v6
	ds_bpermute_b32 v6, v11, v3
	v_cndmask_b32_e64 v3, -v3, v3, s2
	s_waitcnt lgkmcnt(5)
	v_add_f32_e32 v11, v4, v16
	v_cndmask_b32_e64 v21, -v2, v2, s2
	v_and_b32_e32 v0, 2, v0
	s_waitcnt lgkmcnt(3)
	v_dual_add_f32 v2, v5, v12 :: v_dual_add_f32 v5, v7, v15
	s_waitcnt lgkmcnt(1)
	v_add_f32_e32 v8, v9, v10
	v_add_f32_e32 v9, v13, v17
	ds_bpermute_b32 v20, v18, v14
	ds_bpermute_b32 v15, v18, v2
	ds_bpermute_b32 v12, v18, v11
	s_waitcnt lgkmcnt(3)
	v_dual_add_f32 v6, v3, v6 :: v_dual_add_f32 v3, v21, v19
	v_cmp_eq_u32_e64 s2, 0, v0
	ds_bpermute_b32 v13, v18, v8
	ds_bpermute_b32 v10, v18, v9
	;; [unrolled: 1-line block ×4, first 2 shown]
	v_cndmask_b32_e64 v0, -v14, v14, s2
	ds_bpermute_b32 v14, v18, v5
	s_waitcnt lgkmcnt(7)
	v_add_f32_e32 v0, v0, v20
	s_delay_alu instid0(VALU_DEP_1) | instskip(NEXT) | instid1(VALU_DEP_1)
	v_mul_f32_e32 v16, s5, v0
	v_and_b32_e32 v0, 0x7f800000, v16
	s_delay_alu instid0(VALU_DEP_1) | instskip(NEXT) | instid1(VALU_DEP_1)
	v_cmp_ne_u32_e64 s3, 0x7f800000, v0
                                        ; implicit-def: $vgpr0
	s_and_saveexec_b32 s6, s3
	s_delay_alu instid0(SALU_CYCLE_1)
	s_xor_b32 s3, exec_lo, s6
; %bb.3:
	v_bfe_u32 v0, v16, 16, 1
	s_delay_alu instid0(VALU_DEP_1)
	v_add3_u32 v0, v16, v0, 0x7fff
                                        ; implicit-def: $vgpr16
; %bb.4:
	s_and_not1_saveexec_b32 s6, s3
; %bb.5:
	v_and_b32_e32 v0, 0xffff, v16
	v_or_b32_e32 v17, 0x10000, v16
	s_delay_alu instid0(VALU_DEP_2) | instskip(NEXT) | instid1(VALU_DEP_1)
	v_cmp_eq_u32_e64 s3, 0, v0
	v_cndmask_b32_e64 v0, v17, v16, s3
; %bb.6:
	s_or_b32 exec_lo, exec_lo, s6
	v_cndmask_b32_e64 v2, -v2, v2, s2
	s_waitcnt lgkmcnt(6)
	s_delay_alu instid0(VALU_DEP_1) | instskip(NEXT) | instid1(VALU_DEP_1)
	v_add_f32_e32 v2, v2, v15
	v_mul_f32_e32 v15, s5, v2
	s_delay_alu instid0(VALU_DEP_1) | instskip(NEXT) | instid1(VALU_DEP_1)
	v_and_b32_e32 v2, 0x7f800000, v15
	v_cmp_ne_u32_e64 s3, 0x7f800000, v2
                                        ; implicit-def: $vgpr2
	s_delay_alu instid0(VALU_DEP_1) | instskip(NEXT) | instid1(SALU_CYCLE_1)
	s_and_saveexec_b32 s6, s3
	s_xor_b32 s3, exec_lo, s6
; %bb.7:
	v_bfe_u32 v2, v15, 16, 1
	s_delay_alu instid0(VALU_DEP_1)
	v_add3_u32 v2, v15, v2, 0x7fff
                                        ; implicit-def: $vgpr15
; %bb.8:
	s_and_not1_saveexec_b32 s6, s3
; %bb.9:
	v_and_b32_e32 v2, 0xffff, v15
	v_or_b32_e32 v16, 0x10000, v15
	s_delay_alu instid0(VALU_DEP_2) | instskip(NEXT) | instid1(VALU_DEP_1)
	v_cmp_eq_u32_e64 s3, 0, v2
	v_cndmask_b32_e64 v2, v16, v15, s3
; %bb.10:
	s_or_b32 exec_lo, exec_lo, s6
	v_cndmask_b32_e64 v5, -v5, v5, s2
	s_waitcnt lgkmcnt(0)
	s_delay_alu instid0(VALU_DEP_1) | instskip(NEXT) | instid1(VALU_DEP_1)
	v_add_f32_e32 v5, v5, v14
	v_mul_f32_e32 v14, s5, v5
	s_delay_alu instid0(VALU_DEP_1) | instskip(NEXT) | instid1(VALU_DEP_1)
	v_and_b32_e32 v5, 0x7f800000, v14
	v_cmp_ne_u32_e64 s3, 0x7f800000, v5
                                        ; implicit-def: $vgpr5
	s_delay_alu instid0(VALU_DEP_1) | instskip(NEXT) | instid1(SALU_CYCLE_1)
	s_and_saveexec_b32 s6, s3
	s_xor_b32 s3, exec_lo, s6
; %bb.11:
	v_bfe_u32 v5, v14, 16, 1
	s_delay_alu instid0(VALU_DEP_1)
	v_add3_u32 v5, v14, v5, 0x7fff
                                        ; implicit-def: $vgpr14
; %bb.12:
	s_and_not1_saveexec_b32 s6, s3
; %bb.13:
	v_and_b32_e32 v5, 0xffff, v14
	v_or_b32_e32 v15, 0x10000, v14
	s_delay_alu instid0(VALU_DEP_2) | instskip(NEXT) | instid1(VALU_DEP_1)
	v_cmp_eq_u32_e64 s3, 0, v5
	v_cndmask_b32_e64 v5, v15, v14, s3
; %bb.14:
	s_or_b32 exec_lo, exec_lo, s6
	v_cndmask_b32_e64 v8, -v8, v8, s2
	s_delay_alu instid0(VALU_DEP_1) | instskip(NEXT) | instid1(VALU_DEP_1)
	v_add_f32_e32 v8, v8, v13
	v_mul_f32_e32 v13, s5, v8
	s_delay_alu instid0(VALU_DEP_1) | instskip(NEXT) | instid1(VALU_DEP_1)
	v_and_b32_e32 v8, 0x7f800000, v13
	v_cmp_ne_u32_e64 s3, 0x7f800000, v8
                                        ; implicit-def: $vgpr8
	s_delay_alu instid0(VALU_DEP_1) | instskip(NEXT) | instid1(SALU_CYCLE_1)
	s_and_saveexec_b32 s6, s3
	s_xor_b32 s3, exec_lo, s6
; %bb.15:
	v_bfe_u32 v8, v13, 16, 1
	s_delay_alu instid0(VALU_DEP_1)
	v_add3_u32 v8, v13, v8, 0x7fff
                                        ; implicit-def: $vgpr13
; %bb.16:
	s_and_not1_saveexec_b32 s6, s3
; %bb.17:
	v_and_b32_e32 v8, 0xffff, v13
	v_or_b32_e32 v14, 0x10000, v13
	s_delay_alu instid0(VALU_DEP_2) | instskip(NEXT) | instid1(VALU_DEP_1)
	v_cmp_eq_u32_e64 s3, 0, v8
	v_cndmask_b32_e64 v8, v14, v13, s3
; %bb.18:
	s_or_b32 exec_lo, exec_lo, s6
	v_cndmask_b32_e64 v11, -v11, v11, s2
	s_delay_alu instid0(VALU_DEP_1) | instskip(NEXT) | instid1(VALU_DEP_1)
	v_add_f32_e32 v11, v11, v12
	v_mul_f32_e32 v12, s5, v11
	s_delay_alu instid0(VALU_DEP_1) | instskip(NEXT) | instid1(VALU_DEP_1)
	v_and_b32_e32 v11, 0x7f800000, v12
	v_cmp_ne_u32_e64 s3, 0x7f800000, v11
                                        ; implicit-def: $vgpr11
	s_delay_alu instid0(VALU_DEP_1) | instskip(NEXT) | instid1(SALU_CYCLE_1)
	s_and_saveexec_b32 s6, s3
	s_xor_b32 s3, exec_lo, s6
; %bb.19:
	v_bfe_u32 v11, v12, 16, 1
	s_delay_alu instid0(VALU_DEP_1)
	v_add3_u32 v11, v12, v11, 0x7fff
                                        ; implicit-def: $vgpr12
; %bb.20:
	s_and_not1_saveexec_b32 s6, s3
; %bb.21:
	v_and_b32_e32 v11, 0xffff, v12
	v_or_b32_e32 v13, 0x10000, v12
	s_delay_alu instid0(VALU_DEP_2) | instskip(NEXT) | instid1(VALU_DEP_1)
	v_cmp_eq_u32_e64 s3, 0, v11
	v_cndmask_b32_e64 v11, v13, v12, s3
; %bb.22:
	s_or_b32 exec_lo, exec_lo, s6
	v_cndmask_b32_e64 v9, -v9, v9, s2
	s_delay_alu instid0(VALU_DEP_1) | instskip(NEXT) | instid1(VALU_DEP_1)
	v_add_f32_e32 v9, v9, v10
	v_mul_f32_e32 v10, s5, v9
	s_delay_alu instid0(VALU_DEP_1) | instskip(NEXT) | instid1(VALU_DEP_1)
	v_and_b32_e32 v9, 0x7f800000, v10
	v_cmp_ne_u32_e64 s3, 0x7f800000, v9
                                        ; implicit-def: $vgpr9
	s_delay_alu instid0(VALU_DEP_1) | instskip(NEXT) | instid1(SALU_CYCLE_1)
	s_and_saveexec_b32 s6, s3
	s_xor_b32 s3, exec_lo, s6
; %bb.23:
	v_bfe_u32 v9, v10, 16, 1
	s_delay_alu instid0(VALU_DEP_1)
	v_add3_u32 v9, v10, v9, 0x7fff
                                        ; implicit-def: $vgpr10
; %bb.24:
	s_and_not1_saveexec_b32 s6, s3
; %bb.25:
	v_and_b32_e32 v9, 0xffff, v10
	v_or_b32_e32 v12, 0x10000, v10
	s_delay_alu instid0(VALU_DEP_2) | instskip(NEXT) | instid1(VALU_DEP_1)
	v_cmp_eq_u32_e64 s3, 0, v9
	v_cndmask_b32_e64 v9, v12, v10, s3
; %bb.26:
	s_or_b32 exec_lo, exec_lo, s6
	v_cndmask_b32_e64 v6, -v6, v6, s2
	s_delay_alu instid0(VALU_DEP_1) | instskip(NEXT) | instid1(VALU_DEP_1)
	v_add_f32_e32 v6, v6, v7
	v_mul_f32_e32 v7, s5, v6
	s_delay_alu instid0(VALU_DEP_1) | instskip(NEXT) | instid1(VALU_DEP_1)
	v_and_b32_e32 v6, 0x7f800000, v7
	v_cmp_ne_u32_e64 s3, 0x7f800000, v6
                                        ; implicit-def: $vgpr6
	s_delay_alu instid0(VALU_DEP_1) | instskip(NEXT) | instid1(SALU_CYCLE_1)
	s_and_saveexec_b32 s6, s3
	s_xor_b32 s3, exec_lo, s6
; %bb.27:
	v_bfe_u32 v6, v7, 16, 1
	s_delay_alu instid0(VALU_DEP_1)
	v_add3_u32 v6, v7, v6, 0x7fff
                                        ; implicit-def: $vgpr7
; %bb.28:
	s_and_not1_saveexec_b32 s6, s3
; %bb.29:
	v_and_b32_e32 v6, 0xffff, v7
	v_or_b32_e32 v10, 0x10000, v7
	s_delay_alu instid0(VALU_DEP_2) | instskip(NEXT) | instid1(VALU_DEP_1)
	v_cmp_eq_u32_e64 s3, 0, v6
	v_cndmask_b32_e64 v6, v10, v7, s3
; %bb.30:
	s_or_b32 exec_lo, exec_lo, s6
	v_cndmask_b32_e64 v3, -v3, v3, s2
	s_delay_alu instid0(VALU_DEP_1) | instskip(NEXT) | instid1(VALU_DEP_1)
	v_add_f32_e32 v3, v3, v4
	v_mul_f32_e32 v4, s5, v3
	s_delay_alu instid0(VALU_DEP_1) | instskip(NEXT) | instid1(VALU_DEP_1)
	v_and_b32_e32 v3, 0x7f800000, v4
	v_cmp_ne_u32_e64 s2, 0x7f800000, v3
                                        ; implicit-def: $vgpr3
	s_delay_alu instid0(VALU_DEP_1) | instskip(NEXT) | instid1(SALU_CYCLE_1)
	s_and_saveexec_b32 s3, s2
	s_xor_b32 s2, exec_lo, s3
	s_cbranch_execnz .LBB28_34
; %bb.31:
	s_and_not1_saveexec_b32 s3, s2
	s_cbranch_execnz .LBB28_35
.LBB28_32:
	s_or_b32 exec_lo, exec_lo, s3
	s_and_saveexec_b32 s2, vcc_lo
	s_cbranch_execnz .LBB28_36
.LBB28_33:
	s_endpgm
.LBB28_34:
	v_bfe_u32 v3, v4, 16, 1
	s_delay_alu instid0(VALU_DEP_1)
	v_add3_u32 v3, v4, v3, 0x7fff
                                        ; implicit-def: $vgpr4
	s_and_not1_saveexec_b32 s3, s2
	s_cbranch_execz .LBB28_32
.LBB28_35:
	v_and_b32_e32 v3, 0xffff, v4
	v_or_b32_e32 v7, 0x10000, v4
	s_delay_alu instid0(VALU_DEP_2) | instskip(NEXT) | instid1(VALU_DEP_1)
	v_cmp_eq_u32_e64 s2, 0, v3
	v_cndmask_b32_e64 v3, v7, v4, s2
	s_or_b32 exec_lo, exec_lo, s3
	s_and_saveexec_b32 s2, vcc_lo
	s_cbranch_execz .LBB28_33
.LBB28_36:
	s_clause 0x1
	s_load_b64 s[2:3], s[0:1], 0x18
	s_load_b64 s[0:1], s[0:1], 0x30
	v_perm_b32 v7, v3, v6, 0x7060302
	v_perm_b32 v6, v9, v11, 0x7060302
	;; [unrolled: 1-line block ×4, first 2 shown]
	s_waitcnt lgkmcnt(0)
	s_mul_i32 s4, s2, s4
	s_mul_hi_u32 s5, s2, s15
	s_mul_i32 s3, s3, s15
	s_add_i32 s4, s5, s4
	s_mul_i32 s2, s2, s15
	s_add_i32 s3, s4, s3
	s_delay_alu instid0(SALU_CYCLE_1) | instskip(NEXT) | instid1(SALU_CYCLE_1)
	s_lshl_b64 s[2:3], s[2:3], 1
	s_add_u32 s0, s0, s2
	s_addc_u32 s1, s1, s3
	global_store_b128 v1, v[4:7], s[0:1]
	s_nop 0
	s_sendmsg sendmsg(MSG_DEALLOC_VGPRS)
	s_endpgm
	.section	.rodata,"a",@progbits
	.p2align	6, 0x0
	.amdhsa_kernel _Z30fast_hadamard_transform_kernelI37fast_hadamard_transform_kernel_traitsILi4ELi5E14__hip_bfloat16EEv18HadamardParamsBase
		.amdhsa_group_segment_fixed_size 0
		.amdhsa_private_segment_fixed_size 0
		.amdhsa_kernarg_size 56
		.amdhsa_user_sgpr_count 15
		.amdhsa_user_sgpr_dispatch_ptr 0
		.amdhsa_user_sgpr_queue_ptr 0
		.amdhsa_user_sgpr_kernarg_segment_ptr 1
		.amdhsa_user_sgpr_dispatch_id 0
		.amdhsa_user_sgpr_private_segment_size 0
		.amdhsa_wavefront_size32 1
		.amdhsa_uses_dynamic_stack 0
		.amdhsa_enable_private_segment 0
		.amdhsa_system_sgpr_workgroup_id_x 1
		.amdhsa_system_sgpr_workgroup_id_y 0
		.amdhsa_system_sgpr_workgroup_id_z 0
		.amdhsa_system_sgpr_workgroup_info 0
		.amdhsa_system_vgpr_workitem_id 0
		.amdhsa_next_free_vgpr 22
		.amdhsa_next_free_sgpr 16
		.amdhsa_reserve_vcc 1
		.amdhsa_float_round_mode_32 0
		.amdhsa_float_round_mode_16_64 0
		.amdhsa_float_denorm_mode_32 3
		.amdhsa_float_denorm_mode_16_64 3
		.amdhsa_dx10_clamp 1
		.amdhsa_ieee_mode 1
		.amdhsa_fp16_overflow 0
		.amdhsa_workgroup_processor_mode 1
		.amdhsa_memory_ordered 1
		.amdhsa_forward_progress 0
		.amdhsa_shared_vgpr_count 0
		.amdhsa_exception_fp_ieee_invalid_op 0
		.amdhsa_exception_fp_denorm_src 0
		.amdhsa_exception_fp_ieee_div_zero 0
		.amdhsa_exception_fp_ieee_overflow 0
		.amdhsa_exception_fp_ieee_underflow 0
		.amdhsa_exception_fp_ieee_inexact 0
		.amdhsa_exception_int_div_zero 0
	.end_amdhsa_kernel
	.section	.text._Z30fast_hadamard_transform_kernelI37fast_hadamard_transform_kernel_traitsILi4ELi5E14__hip_bfloat16EEv18HadamardParamsBase,"axG",@progbits,_Z30fast_hadamard_transform_kernelI37fast_hadamard_transform_kernel_traitsILi4ELi5E14__hip_bfloat16EEv18HadamardParamsBase,comdat
.Lfunc_end28:
	.size	_Z30fast_hadamard_transform_kernelI37fast_hadamard_transform_kernel_traitsILi4ELi5E14__hip_bfloat16EEv18HadamardParamsBase, .Lfunc_end28-_Z30fast_hadamard_transform_kernelI37fast_hadamard_transform_kernel_traitsILi4ELi5E14__hip_bfloat16EEv18HadamardParamsBase
                                        ; -- End function
	.section	.AMDGPU.csdata,"",@progbits
; Kernel info:
; codeLenInByte = 1816
; NumSgprs: 18
; NumVgprs: 22
; ScratchSize: 0
; MemoryBound: 0
; FloatMode: 240
; IeeeMode: 1
; LDSByteSize: 0 bytes/workgroup (compile time only)
; SGPRBlocks: 2
; VGPRBlocks: 2
; NumSGPRsForWavesPerEU: 18
; NumVGPRsForWavesPerEU: 22
; Occupancy: 16
; WaveLimiterHint : 0
; COMPUTE_PGM_RSRC2:SCRATCH_EN: 0
; COMPUTE_PGM_RSRC2:USER_SGPR: 15
; COMPUTE_PGM_RSRC2:TRAP_HANDLER: 0
; COMPUTE_PGM_RSRC2:TGID_X_EN: 1
; COMPUTE_PGM_RSRC2:TGID_Y_EN: 0
; COMPUTE_PGM_RSRC2:TGID_Z_EN: 0
; COMPUTE_PGM_RSRC2:TIDIG_COMP_CNT: 0
	.section	.text._Z30fast_hadamard_transform_kernelI37fast_hadamard_transform_kernel_traitsILi8ELi6E14__hip_bfloat16EEv18HadamardParamsBase,"axG",@progbits,_Z30fast_hadamard_transform_kernelI37fast_hadamard_transform_kernel_traitsILi8ELi6E14__hip_bfloat16EEv18HadamardParamsBase,comdat
	.protected	_Z30fast_hadamard_transform_kernelI37fast_hadamard_transform_kernel_traitsILi8ELi6E14__hip_bfloat16EEv18HadamardParamsBase ; -- Begin function _Z30fast_hadamard_transform_kernelI37fast_hadamard_transform_kernel_traitsILi8ELi6E14__hip_bfloat16EEv18HadamardParamsBase
	.globl	_Z30fast_hadamard_transform_kernelI37fast_hadamard_transform_kernel_traitsILi8ELi6E14__hip_bfloat16EEv18HadamardParamsBase
	.p2align	8
	.type	_Z30fast_hadamard_transform_kernelI37fast_hadamard_transform_kernel_traitsILi8ELi6E14__hip_bfloat16EEv18HadamardParamsBase,@function
_Z30fast_hadamard_transform_kernelI37fast_hadamard_transform_kernel_traitsILi8ELi6E14__hip_bfloat16EEv18HadamardParamsBase: ; @_Z30fast_hadamard_transform_kernelI37fast_hadamard_transform_kernel_traitsILi8ELi6E14__hip_bfloat16EEv18HadamardParamsBase
; %bb.0:
	s_clause 0x1
	s_load_b32 s2, s[0:1], 0x4
	s_load_b32 s5, s[0:1], 0x20
	v_dual_mov_b32 v6, 0 :: v_dual_lshlrev_b32 v9, 3, v0
	v_dual_mov_b32 v2, 0 :: v_dual_mov_b32 v3, 0
	v_dual_mov_b32 v4, 0 :: v_dual_mov_b32 v5, 0
	;; [unrolled: 1-line block ×3, first 2 shown]
	v_lshlrev_b32_e32 v1, 4, v0
	s_ashr_i32 s4, s15, 31
	s_waitcnt lgkmcnt(0)
	v_cmp_gt_u32_e32 vcc_lo, s2, v9
	v_mov_b32_e32 v9, 0
	s_and_saveexec_b32 s2, vcc_lo
	s_cbranch_execz .LBB29_2
; %bb.1:
	s_clause 0x1
	s_load_b64 s[6:7], s[0:1], 0x10
	s_load_b64 s[8:9], s[0:1], 0x28
	s_waitcnt lgkmcnt(0)
	s_mul_i32 s3, s6, s4
	s_mul_hi_u32 s10, s6, s15
	s_mul_i32 s7, s7, s15
	s_add_i32 s3, s10, s3
	s_mul_i32 s6, s6, s15
	s_add_i32 s7, s3, s7
	s_delay_alu instid0(SALU_CYCLE_1) | instskip(NEXT) | instid1(SALU_CYCLE_1)
	s_lshl_b64 s[6:7], s[6:7], 1
	s_add_u32 s6, s8, s6
	s_addc_u32 s7, s9, s7
	global_load_b128 v[10:13], v1, s[6:7]
	s_waitcnt vmcnt(0)
	v_and_b32_e32 v9, 0xffff0000, v10
	v_lshlrev_b32_e32 v8, 16, v10
	v_and_b32_e32 v7, 0xffff0000, v11
	v_lshlrev_b32_e32 v6, 16, v11
	;; [unrolled: 2-line block ×4, first 2 shown]
.LBB29_2:
	s_or_b32 exec_lo, exec_lo, s2
	v_mbcnt_lo_u32_b32 v10, -1, 0
	v_dual_add_f32 v11, v9, v8 :: v_dual_add_f32 v12, v7, v6
	s_delay_alu instid0(VALU_DEP_3) | instskip(NEXT) | instid1(VALU_DEP_3)
	v_dual_add_f32 v13, v5, v4 :: v_dual_add_f32 v14, v3, v2
	v_xor_b32_e32 v15, 1, v10
	v_sub_f32_e32 v4, v4, v5
	v_sub_f32_e32 v2, v2, v3
	s_delay_alu instid0(VALU_DEP_4) | instskip(NEXT) | instid1(VALU_DEP_4)
	v_dual_add_f32 v16, v14, v13 :: v_dual_sub_f32 v13, v13, v14
	v_cmp_gt_i32_e64 s2, 32, v15
	v_xor_b32_e32 v14, 2, v10
	s_delay_alu instid0(VALU_DEP_2) | instskip(SKIP_3) | instid1(VALU_DEP_4)
	v_cndmask_b32_e64 v15, v10, v15, s2
	v_sub_f32_e32 v8, v8, v9
	v_add_f32_e32 v9, v12, v11
	v_dual_sub_f32 v6, v6, v7 :: v_dual_sub_f32 v7, v11, v12
	v_lshlrev_b32_e32 v5, 2, v15
	v_cmp_gt_i32_e64 s3, 32, v14
	s_delay_alu instid0(VALU_DEP_4) | instskip(NEXT) | instid1(VALU_DEP_4)
	v_add_f32_e32 v3, v16, v9
	v_dual_add_f32 v11, v6, v8 :: v_dual_sub_f32 v6, v8, v6
	v_dual_add_f32 v8, v2, v4 :: v_dual_add_f32 v17, v13, v7
	ds_bpermute_b32 v12, v5, v3
	v_dual_sub_f32 v2, v4, v2 :: v_dual_sub_f32 v9, v9, v16
	v_dual_add_f32 v15, v8, v11 :: v_dual_and_b32 v4, 1, v0
	v_sub_f32_e32 v8, v11, v8
	ds_bpermute_b32 v16, v5, v17
	ds_bpermute_b32 v20, v5, v9
	v_cmp_eq_u32_e64 s2, 0, v4
	ds_bpermute_b32 v11, v5, v15
	v_cndmask_b32_e64 v3, -v3, v3, s2
	v_add_f32_e32 v18, v2, v6
	v_cndmask_b32_e64 v9, -v9, v9, s2
	s_waitcnt lgkmcnt(3)
	s_delay_alu instid0(VALU_DEP_3)
	v_add_f32_e32 v3, v3, v12
	ds_bpermute_b32 v19, v5, v18
	v_cndmask_b32_e64 v12, -v17, v17, s2
	v_sub_f32_e32 v4, v7, v13
	v_cndmask_b32_e64 v7, -v15, v15, s2
	v_sub_f32_e32 v2, v6, v2
	v_cndmask_b32_e64 v6, v10, v14, s3
	ds_bpermute_b32 v14, v5, v8
	v_cndmask_b32_e64 v13, -v18, v18, s2
	s_waitcnt lgkmcnt(2)
	v_add_f32_e32 v7, v7, v11
	v_add_f32_e32 v11, v12, v16
	ds_bpermute_b32 v15, v5, v4
	ds_bpermute_b32 v5, v5, v2
	v_dual_add_f32 v9, v9, v20 :: v_dual_lshlrev_b32 v6, 2, v6
	v_cndmask_b32_e64 v4, -v4, v4, s2
	v_cndmask_b32_e64 v2, -v2, v2, s2
	v_xor_b32_e32 v16, 4, v10
	ds_bpermute_b32 v17, v6, v3
	ds_bpermute_b32 v18, v6, v11
	s_waitcnt lgkmcnt(5)
	v_dual_add_f32 v12, v13, v19 :: v_dual_and_b32 v13, 2, v0
	v_cmp_gt_i32_e64 s3, 32, v16
	ds_bpermute_b32 v19, v6, v12
	v_cndmask_b32_e64 v10, v10, v16, s3
	s_waitcnt lgkmcnt(3)
	v_dual_add_f32 v4, v4, v15 :: v_dual_add_f32 v15, v2, v5
	v_cndmask_b32_e64 v8, -v8, v8, s2
	v_cmp_eq_u32_e64 s2, 0, v13
	ds_bpermute_b32 v13, v6, v7
	ds_bpermute_b32 v21, v6, v15
	v_cndmask_b32_e64 v3, -v3, v3, s2
	v_add_f32_e32 v14, v8, v14
	v_cndmask_b32_e64 v2, -v7, v7, s2
	v_cndmask_b32_e64 v5, -v11, v11, s2
	s_waitcnt lgkmcnt(4)
	v_add_f32_e32 v3, v3, v17
	ds_bpermute_b32 v17, v6, v14
	v_cndmask_b32_e64 v7, -v14, v14, s2
	v_lshlrev_b32_e32 v16, 2, v10
	ds_bpermute_b32 v10, v6, v9
	s_waitcnt lgkmcnt(5)
	v_add_f32_e32 v5, v5, v18
	ds_bpermute_b32 v20, v6, v4
	v_cndmask_b32_e64 v6, -v12, v12, s2
	v_cndmask_b32_e64 v12, -v15, v15, s2
	;; [unrolled: 1-line block ×3, first 2 shown]
	s_waitcnt lgkmcnt(4)
	v_add_f32_e32 v2, v2, v13
	v_add_f32_e32 v8, v6, v19
	v_cndmask_b32_e64 v6, -v9, v9, s2
	s_waitcnt lgkmcnt(2)
	v_dual_add_f32 v9, v7, v17 :: v_dual_and_b32 v0, 4, v0
	ds_bpermute_b32 v22, v16, v3
	ds_bpermute_b32 v15, v16, v2
	s_waitcnt lgkmcnt(3)
	v_add_f32_e32 v11, v6, v10
	v_cmp_eq_u32_e64 s2, 0, v0
	s_waitcnt lgkmcnt(2)
	v_add_f32_e32 v6, v4, v20
	ds_bpermute_b32 v14, v16, v5
	ds_bpermute_b32 v10, v16, v9
	v_cndmask_b32_e64 v0, -v3, v3, s2
	v_add_f32_e32 v3, v12, v21
	ds_bpermute_b32 v13, v16, v8
	ds_bpermute_b32 v12, v16, v11
	;; [unrolled: 1-line block ×4, first 2 shown]
	s_waitcnt lgkmcnt(7)
	v_add_f32_e32 v0, v0, v22
	s_delay_alu instid0(VALU_DEP_1) | instskip(NEXT) | instid1(VALU_DEP_1)
	v_mul_f32_e32 v16, s5, v0
	v_and_b32_e32 v0, 0x7f800000, v16
	s_delay_alu instid0(VALU_DEP_1) | instskip(NEXT) | instid1(VALU_DEP_1)
	v_cmp_ne_u32_e64 s3, 0x7f800000, v0
                                        ; implicit-def: $vgpr0
	s_and_saveexec_b32 s6, s3
	s_delay_alu instid0(SALU_CYCLE_1)
	s_xor_b32 s3, exec_lo, s6
; %bb.3:
	v_bfe_u32 v0, v16, 16, 1
	s_delay_alu instid0(VALU_DEP_1)
	v_add3_u32 v0, v16, v0, 0x7fff
                                        ; implicit-def: $vgpr16
; %bb.4:
	s_and_not1_saveexec_b32 s6, s3
; %bb.5:
	v_and_b32_e32 v0, 0xffff, v16
	v_or_b32_e32 v17, 0x10000, v16
	s_delay_alu instid0(VALU_DEP_2) | instskip(NEXT) | instid1(VALU_DEP_1)
	v_cmp_eq_u32_e64 s3, 0, v0
	v_cndmask_b32_e64 v0, v17, v16, s3
; %bb.6:
	s_or_b32 exec_lo, exec_lo, s6
	v_cndmask_b32_e64 v2, -v2, v2, s2
	s_waitcnt lgkmcnt(6)
	s_delay_alu instid0(VALU_DEP_1) | instskip(NEXT) | instid1(VALU_DEP_1)
	v_add_f32_e32 v2, v2, v15
	v_mul_f32_e32 v15, s5, v2
	s_delay_alu instid0(VALU_DEP_1) | instskip(NEXT) | instid1(VALU_DEP_1)
	v_and_b32_e32 v2, 0x7f800000, v15
	v_cmp_ne_u32_e64 s3, 0x7f800000, v2
                                        ; implicit-def: $vgpr2
	s_delay_alu instid0(VALU_DEP_1) | instskip(NEXT) | instid1(SALU_CYCLE_1)
	s_and_saveexec_b32 s6, s3
	s_xor_b32 s3, exec_lo, s6
; %bb.7:
	v_bfe_u32 v2, v15, 16, 1
	s_delay_alu instid0(VALU_DEP_1)
	v_add3_u32 v2, v15, v2, 0x7fff
                                        ; implicit-def: $vgpr15
; %bb.8:
	s_and_not1_saveexec_b32 s6, s3
; %bb.9:
	v_and_b32_e32 v2, 0xffff, v15
	v_or_b32_e32 v16, 0x10000, v15
	s_delay_alu instid0(VALU_DEP_2) | instskip(NEXT) | instid1(VALU_DEP_1)
	v_cmp_eq_u32_e64 s3, 0, v2
	v_cndmask_b32_e64 v2, v16, v15, s3
; %bb.10:
	s_or_b32 exec_lo, exec_lo, s6
	v_cndmask_b32_e64 v5, -v5, v5, s2
	s_waitcnt lgkmcnt(5)
	s_delay_alu instid0(VALU_DEP_1) | instskip(NEXT) | instid1(VALU_DEP_1)
	v_add_f32_e32 v5, v5, v14
	v_mul_f32_e32 v14, s5, v5
	s_delay_alu instid0(VALU_DEP_1) | instskip(NEXT) | instid1(VALU_DEP_1)
	v_and_b32_e32 v5, 0x7f800000, v14
	v_cmp_ne_u32_e64 s3, 0x7f800000, v5
                                        ; implicit-def: $vgpr5
	s_delay_alu instid0(VALU_DEP_1) | instskip(NEXT) | instid1(SALU_CYCLE_1)
	s_and_saveexec_b32 s6, s3
	s_xor_b32 s3, exec_lo, s6
; %bb.11:
	v_bfe_u32 v5, v14, 16, 1
	s_delay_alu instid0(VALU_DEP_1)
	v_add3_u32 v5, v14, v5, 0x7fff
                                        ; implicit-def: $vgpr14
; %bb.12:
	s_and_not1_saveexec_b32 s6, s3
; %bb.13:
	v_and_b32_e32 v5, 0xffff, v14
	v_or_b32_e32 v15, 0x10000, v14
	s_delay_alu instid0(VALU_DEP_2) | instskip(NEXT) | instid1(VALU_DEP_1)
	v_cmp_eq_u32_e64 s3, 0, v5
	v_cndmask_b32_e64 v5, v15, v14, s3
; %bb.14:
	s_or_b32 exec_lo, exec_lo, s6
	v_cndmask_b32_e64 v8, -v8, v8, s2
	s_waitcnt lgkmcnt(3)
	s_delay_alu instid0(VALU_DEP_1) | instskip(NEXT) | instid1(VALU_DEP_1)
	v_add_f32_e32 v8, v8, v13
	v_mul_f32_e32 v13, s5, v8
	s_delay_alu instid0(VALU_DEP_1) | instskip(NEXT) | instid1(VALU_DEP_1)
	v_and_b32_e32 v8, 0x7f800000, v13
	v_cmp_ne_u32_e64 s3, 0x7f800000, v8
                                        ; implicit-def: $vgpr8
	s_delay_alu instid0(VALU_DEP_1) | instskip(NEXT) | instid1(SALU_CYCLE_1)
	s_and_saveexec_b32 s6, s3
	s_xor_b32 s3, exec_lo, s6
; %bb.15:
	v_bfe_u32 v8, v13, 16, 1
	s_delay_alu instid0(VALU_DEP_1)
	v_add3_u32 v8, v13, v8, 0x7fff
                                        ; implicit-def: $vgpr13
; %bb.16:
	s_and_not1_saveexec_b32 s6, s3
; %bb.17:
	v_and_b32_e32 v8, 0xffff, v13
	v_or_b32_e32 v14, 0x10000, v13
	s_delay_alu instid0(VALU_DEP_2) | instskip(NEXT) | instid1(VALU_DEP_1)
	v_cmp_eq_u32_e64 s3, 0, v8
	v_cndmask_b32_e64 v8, v14, v13, s3
; %bb.18:
	s_or_b32 exec_lo, exec_lo, s6
	v_cndmask_b32_e64 v11, -v11, v11, s2
	s_waitcnt lgkmcnt(2)
	s_delay_alu instid0(VALU_DEP_1) | instskip(NEXT) | instid1(VALU_DEP_1)
	v_add_f32_e32 v11, v11, v12
	v_mul_f32_e32 v12, s5, v11
	s_delay_alu instid0(VALU_DEP_1) | instskip(NEXT) | instid1(VALU_DEP_1)
	v_and_b32_e32 v11, 0x7f800000, v12
	v_cmp_ne_u32_e64 s3, 0x7f800000, v11
                                        ; implicit-def: $vgpr11
	s_delay_alu instid0(VALU_DEP_1) | instskip(NEXT) | instid1(SALU_CYCLE_1)
	s_and_saveexec_b32 s6, s3
	s_xor_b32 s3, exec_lo, s6
; %bb.19:
	v_bfe_u32 v11, v12, 16, 1
	s_delay_alu instid0(VALU_DEP_1)
	v_add3_u32 v11, v12, v11, 0x7fff
                                        ; implicit-def: $vgpr12
; %bb.20:
	s_and_not1_saveexec_b32 s6, s3
; %bb.21:
	v_and_b32_e32 v11, 0xffff, v12
	v_or_b32_e32 v13, 0x10000, v12
	s_delay_alu instid0(VALU_DEP_2) | instskip(NEXT) | instid1(VALU_DEP_1)
	v_cmp_eq_u32_e64 s3, 0, v11
	v_cndmask_b32_e64 v11, v13, v12, s3
; %bb.22:
	s_or_b32 exec_lo, exec_lo, s6
	v_cndmask_b32_e64 v9, -v9, v9, s2
	s_delay_alu instid0(VALU_DEP_1) | instskip(NEXT) | instid1(VALU_DEP_1)
	v_add_f32_e32 v9, v9, v10
	v_mul_f32_e32 v10, s5, v9
	s_delay_alu instid0(VALU_DEP_1) | instskip(NEXT) | instid1(VALU_DEP_1)
	v_and_b32_e32 v9, 0x7f800000, v10
	v_cmp_ne_u32_e64 s3, 0x7f800000, v9
                                        ; implicit-def: $vgpr9
	s_delay_alu instid0(VALU_DEP_1) | instskip(NEXT) | instid1(SALU_CYCLE_1)
	s_and_saveexec_b32 s6, s3
	s_xor_b32 s3, exec_lo, s6
; %bb.23:
	v_bfe_u32 v9, v10, 16, 1
	s_delay_alu instid0(VALU_DEP_1)
	v_add3_u32 v9, v10, v9, 0x7fff
                                        ; implicit-def: $vgpr10
; %bb.24:
	s_and_not1_saveexec_b32 s6, s3
; %bb.25:
	v_and_b32_e32 v9, 0xffff, v10
	v_or_b32_e32 v12, 0x10000, v10
	s_delay_alu instid0(VALU_DEP_2) | instskip(NEXT) | instid1(VALU_DEP_1)
	v_cmp_eq_u32_e64 s3, 0, v9
	v_cndmask_b32_e64 v9, v12, v10, s3
; %bb.26:
	s_or_b32 exec_lo, exec_lo, s6
	v_cndmask_b32_e64 v6, -v6, v6, s2
	s_waitcnt lgkmcnt(1)
	s_delay_alu instid0(VALU_DEP_1) | instskip(NEXT) | instid1(VALU_DEP_1)
	v_add_f32_e32 v6, v6, v7
	v_mul_f32_e32 v7, s5, v6
	s_delay_alu instid0(VALU_DEP_1) | instskip(NEXT) | instid1(VALU_DEP_1)
	v_and_b32_e32 v6, 0x7f800000, v7
	v_cmp_ne_u32_e64 s3, 0x7f800000, v6
                                        ; implicit-def: $vgpr6
	s_delay_alu instid0(VALU_DEP_1) | instskip(NEXT) | instid1(SALU_CYCLE_1)
	s_and_saveexec_b32 s6, s3
	s_xor_b32 s3, exec_lo, s6
; %bb.27:
	v_bfe_u32 v6, v7, 16, 1
	s_delay_alu instid0(VALU_DEP_1)
	v_add3_u32 v6, v7, v6, 0x7fff
                                        ; implicit-def: $vgpr7
; %bb.28:
	s_and_not1_saveexec_b32 s6, s3
; %bb.29:
	v_and_b32_e32 v6, 0xffff, v7
	v_or_b32_e32 v10, 0x10000, v7
	s_delay_alu instid0(VALU_DEP_2) | instskip(NEXT) | instid1(VALU_DEP_1)
	v_cmp_eq_u32_e64 s3, 0, v6
	v_cndmask_b32_e64 v6, v10, v7, s3
; %bb.30:
	s_or_b32 exec_lo, exec_lo, s6
	v_cndmask_b32_e64 v3, -v3, v3, s2
	s_waitcnt lgkmcnt(0)
	s_delay_alu instid0(VALU_DEP_1) | instskip(NEXT) | instid1(VALU_DEP_1)
	v_add_f32_e32 v3, v3, v4
	v_mul_f32_e32 v4, s5, v3
	s_delay_alu instid0(VALU_DEP_1) | instskip(NEXT) | instid1(VALU_DEP_1)
	v_and_b32_e32 v3, 0x7f800000, v4
	v_cmp_ne_u32_e64 s2, 0x7f800000, v3
                                        ; implicit-def: $vgpr3
	s_delay_alu instid0(VALU_DEP_1) | instskip(NEXT) | instid1(SALU_CYCLE_1)
	s_and_saveexec_b32 s3, s2
	s_xor_b32 s2, exec_lo, s3
	s_cbranch_execnz .LBB29_34
; %bb.31:
	s_and_not1_saveexec_b32 s3, s2
	s_cbranch_execnz .LBB29_35
.LBB29_32:
	s_or_b32 exec_lo, exec_lo, s3
	s_and_saveexec_b32 s2, vcc_lo
	s_cbranch_execnz .LBB29_36
.LBB29_33:
	s_endpgm
.LBB29_34:
	v_bfe_u32 v3, v4, 16, 1
	s_delay_alu instid0(VALU_DEP_1)
	v_add3_u32 v3, v4, v3, 0x7fff
                                        ; implicit-def: $vgpr4
	s_and_not1_saveexec_b32 s3, s2
	s_cbranch_execz .LBB29_32
.LBB29_35:
	v_and_b32_e32 v3, 0xffff, v4
	v_or_b32_e32 v7, 0x10000, v4
	s_delay_alu instid0(VALU_DEP_2) | instskip(NEXT) | instid1(VALU_DEP_1)
	v_cmp_eq_u32_e64 s2, 0, v3
	v_cndmask_b32_e64 v3, v7, v4, s2
	s_or_b32 exec_lo, exec_lo, s3
	s_and_saveexec_b32 s2, vcc_lo
	s_cbranch_execz .LBB29_33
.LBB29_36:
	s_clause 0x1
	s_load_b64 s[2:3], s[0:1], 0x18
	s_load_b64 s[0:1], s[0:1], 0x30
	v_perm_b32 v7, v3, v6, 0x7060302
	v_perm_b32 v6, v9, v11, 0x7060302
	;; [unrolled: 1-line block ×4, first 2 shown]
	s_waitcnt lgkmcnt(0)
	s_mul_i32 s4, s2, s4
	s_mul_hi_u32 s5, s2, s15
	s_mul_i32 s3, s3, s15
	s_add_i32 s4, s5, s4
	s_mul_i32 s2, s2, s15
	s_add_i32 s3, s4, s3
	s_delay_alu instid0(SALU_CYCLE_1) | instskip(NEXT) | instid1(SALU_CYCLE_1)
	s_lshl_b64 s[2:3], s[2:3], 1
	s_add_u32 s0, s0, s2
	s_addc_u32 s1, s1, s3
	global_store_b128 v1, v[4:7], s[0:1]
	s_nop 0
	s_sendmsg sendmsg(MSG_DEALLOC_VGPRS)
	s_endpgm
	.section	.rodata,"a",@progbits
	.p2align	6, 0x0
	.amdhsa_kernel _Z30fast_hadamard_transform_kernelI37fast_hadamard_transform_kernel_traitsILi8ELi6E14__hip_bfloat16EEv18HadamardParamsBase
		.amdhsa_group_segment_fixed_size 0
		.amdhsa_private_segment_fixed_size 0
		.amdhsa_kernarg_size 56
		.amdhsa_user_sgpr_count 15
		.amdhsa_user_sgpr_dispatch_ptr 0
		.amdhsa_user_sgpr_queue_ptr 0
		.amdhsa_user_sgpr_kernarg_segment_ptr 1
		.amdhsa_user_sgpr_dispatch_id 0
		.amdhsa_user_sgpr_private_segment_size 0
		.amdhsa_wavefront_size32 1
		.amdhsa_uses_dynamic_stack 0
		.amdhsa_enable_private_segment 0
		.amdhsa_system_sgpr_workgroup_id_x 1
		.amdhsa_system_sgpr_workgroup_id_y 0
		.amdhsa_system_sgpr_workgroup_id_z 0
		.amdhsa_system_sgpr_workgroup_info 0
		.amdhsa_system_vgpr_workitem_id 0
		.amdhsa_next_free_vgpr 23
		.amdhsa_next_free_sgpr 16
		.amdhsa_reserve_vcc 1
		.amdhsa_float_round_mode_32 0
		.amdhsa_float_round_mode_16_64 0
		.amdhsa_float_denorm_mode_32 3
		.amdhsa_float_denorm_mode_16_64 3
		.amdhsa_dx10_clamp 1
		.amdhsa_ieee_mode 1
		.amdhsa_fp16_overflow 0
		.amdhsa_workgroup_processor_mode 1
		.amdhsa_memory_ordered 1
		.amdhsa_forward_progress 0
		.amdhsa_shared_vgpr_count 0
		.amdhsa_exception_fp_ieee_invalid_op 0
		.amdhsa_exception_fp_denorm_src 0
		.amdhsa_exception_fp_ieee_div_zero 0
		.amdhsa_exception_fp_ieee_overflow 0
		.amdhsa_exception_fp_ieee_underflow 0
		.amdhsa_exception_fp_ieee_inexact 0
		.amdhsa_exception_int_div_zero 0
	.end_amdhsa_kernel
	.section	.text._Z30fast_hadamard_transform_kernelI37fast_hadamard_transform_kernel_traitsILi8ELi6E14__hip_bfloat16EEv18HadamardParamsBase,"axG",@progbits,_Z30fast_hadamard_transform_kernelI37fast_hadamard_transform_kernel_traitsILi8ELi6E14__hip_bfloat16EEv18HadamardParamsBase,comdat
.Lfunc_end29:
	.size	_Z30fast_hadamard_transform_kernelI37fast_hadamard_transform_kernel_traitsILi8ELi6E14__hip_bfloat16EEv18HadamardParamsBase, .Lfunc_end29-_Z30fast_hadamard_transform_kernelI37fast_hadamard_transform_kernel_traitsILi8ELi6E14__hip_bfloat16EEv18HadamardParamsBase
                                        ; -- End function
	.section	.AMDGPU.csdata,"",@progbits
; Kernel info:
; codeLenInByte = 2056
; NumSgprs: 18
; NumVgprs: 23
; ScratchSize: 0
; MemoryBound: 0
; FloatMode: 240
; IeeeMode: 1
; LDSByteSize: 0 bytes/workgroup (compile time only)
; SGPRBlocks: 2
; VGPRBlocks: 2
; NumSGPRsForWavesPerEU: 18
; NumVGPRsForWavesPerEU: 23
; Occupancy: 16
; WaveLimiterHint : 0
; COMPUTE_PGM_RSRC2:SCRATCH_EN: 0
; COMPUTE_PGM_RSRC2:USER_SGPR: 15
; COMPUTE_PGM_RSRC2:TRAP_HANDLER: 0
; COMPUTE_PGM_RSRC2:TGID_X_EN: 1
; COMPUTE_PGM_RSRC2:TGID_Y_EN: 0
; COMPUTE_PGM_RSRC2:TGID_Z_EN: 0
; COMPUTE_PGM_RSRC2:TIDIG_COMP_CNT: 0
	.section	.text._Z30fast_hadamard_transform_kernelI37fast_hadamard_transform_kernel_traitsILi16ELi7E14__hip_bfloat16EEv18HadamardParamsBase,"axG",@progbits,_Z30fast_hadamard_transform_kernelI37fast_hadamard_transform_kernel_traitsILi16ELi7E14__hip_bfloat16EEv18HadamardParamsBase,comdat
	.protected	_Z30fast_hadamard_transform_kernelI37fast_hadamard_transform_kernel_traitsILi16ELi7E14__hip_bfloat16EEv18HadamardParamsBase ; -- Begin function _Z30fast_hadamard_transform_kernelI37fast_hadamard_transform_kernel_traitsILi16ELi7E14__hip_bfloat16EEv18HadamardParamsBase
	.globl	_Z30fast_hadamard_transform_kernelI37fast_hadamard_transform_kernel_traitsILi16ELi7E14__hip_bfloat16EEv18HadamardParamsBase
	.p2align	8
	.type	_Z30fast_hadamard_transform_kernelI37fast_hadamard_transform_kernel_traitsILi16ELi7E14__hip_bfloat16EEv18HadamardParamsBase,@function
_Z30fast_hadamard_transform_kernelI37fast_hadamard_transform_kernel_traitsILi16ELi7E14__hip_bfloat16EEv18HadamardParamsBase: ; @_Z30fast_hadamard_transform_kernelI37fast_hadamard_transform_kernel_traitsILi16ELi7E14__hip_bfloat16EEv18HadamardParamsBase
; %bb.0:
	s_clause 0x1
	s_load_b32 s2, s[0:1], 0x4
	s_load_b32 s5, s[0:1], 0x20
	v_dual_mov_b32 v6, 0 :: v_dual_lshlrev_b32 v9, 3, v0
	v_dual_mov_b32 v2, 0 :: v_dual_mov_b32 v3, 0
	v_dual_mov_b32 v4, 0 :: v_dual_mov_b32 v5, 0
	;; [unrolled: 1-line block ×3, first 2 shown]
	v_lshlrev_b32_e32 v1, 4, v0
	s_ashr_i32 s4, s15, 31
	s_waitcnt lgkmcnt(0)
	v_cmp_gt_u32_e32 vcc_lo, s2, v9
	v_mov_b32_e32 v9, 0
	s_and_saveexec_b32 s2, vcc_lo
	s_cbranch_execz .LBB30_2
; %bb.1:
	s_clause 0x1
	s_load_b64 s[6:7], s[0:1], 0x10
	s_load_b64 s[8:9], s[0:1], 0x28
	s_waitcnt lgkmcnt(0)
	s_mul_i32 s3, s6, s4
	s_mul_hi_u32 s10, s6, s15
	s_mul_i32 s7, s7, s15
	s_add_i32 s3, s10, s3
	s_mul_i32 s6, s6, s15
	s_add_i32 s7, s3, s7
	s_delay_alu instid0(SALU_CYCLE_1) | instskip(NEXT) | instid1(SALU_CYCLE_1)
	s_lshl_b64 s[6:7], s[6:7], 1
	s_add_u32 s6, s8, s6
	s_addc_u32 s7, s9, s7
	global_load_b128 v[10:13], v1, s[6:7]
	s_waitcnt vmcnt(0)
	v_and_b32_e32 v9, 0xffff0000, v10
	v_lshlrev_b32_e32 v8, 16, v10
	v_and_b32_e32 v7, 0xffff0000, v11
	v_lshlrev_b32_e32 v6, 16, v11
	;; [unrolled: 2-line block ×4, first 2 shown]
.LBB30_2:
	s_or_b32 exec_lo, exec_lo, s2
	v_mbcnt_lo_u32_b32 v11, -1, 0
	v_add_f32_e32 v10, v9, v8
	s_delay_alu instid0(VALU_DEP_3) | instskip(SKIP_1) | instid1(VALU_DEP_4)
	v_dual_sub_f32 v8, v8, v9 :: v_dual_add_f32 v13, v3, v2
	v_dual_add_f32 v9, v7, v6 :: v_dual_add_f32 v12, v5, v4
	v_xor_b32_e32 v14, 1, v11
	v_sub_f32_e32 v6, v6, v7
	v_sub_f32_e32 v2, v2, v3
	s_delay_alu instid0(VALU_DEP_4)
	v_sub_f32_e32 v3, v10, v9
	v_dual_sub_f32 v4, v4, v5 :: v_dual_add_f32 v7, v13, v12
	v_add_f32_e32 v5, v9, v10
	v_cmp_gt_i32_e64 s2, 32, v14
	v_add_f32_e32 v9, v6, v8
	v_xor_b32_e32 v21, 2, v11
	s_delay_alu instid0(VALU_DEP_4) | instskip(NEXT) | instid1(VALU_DEP_4)
	v_add_f32_e32 v10, v7, v5
	v_cndmask_b32_e64 v14, v11, v14, s2
	v_sub_f32_e32 v6, v8, v6
	v_sub_f32_e32 v8, v12, v13
	v_dual_add_f32 v12, v2, v4 :: v_dual_sub_f32 v5, v5, v7
	s_delay_alu instid0(VALU_DEP_4) | instskip(SKIP_1) | instid1(VALU_DEP_3)
	v_lshlrev_b32_e32 v14, 2, v14
	v_cmp_gt_i32_e64 s3, 32, v21
	v_add_f32_e32 v7, v12, v9
	v_sub_f32_e32 v9, v9, v12
	ds_bpermute_b32 v19, v14, v5
	v_and_b32_e32 v12, 1, v0
	v_sub_f32_e32 v2, v4, v2
	ds_bpermute_b32 v16, v14, v7
	ds_bpermute_b32 v20, v14, v9
	;; [unrolled: 1-line block ×3, first 2 shown]
	v_cmp_eq_u32_e64 s2, 0, v12
	v_add_f32_e32 v15, v2, v6
	v_add_f32_e32 v13, v8, v3
	v_sub_f32_e32 v3, v3, v8
	s_delay_alu instid0(VALU_DEP_4)
	v_cndmask_b32_e64 v7, -v7, v7, s2
	v_sub_f32_e32 v2, v6, v2
	ds_bpermute_b32 v17, v14, v13
	v_cndmask_b32_e64 v8, -v13, v13, s2
	v_cndmask_b32_e64 v6, v11, v21, s3
	v_cndmask_b32_e64 v9, -v9, v9, s2
	v_cndmask_b32_e64 v10, -v10, v10, s2
	ds_bpermute_b32 v18, v14, v15
	ds_bpermute_b32 v12, v14, v3
	v_lshlrev_b32_e32 v6, 2, v6
	v_cndmask_b32_e64 v5, -v5, v5, s2
	v_cndmask_b32_e64 v3, -v3, v3, s2
	s_waitcnt lgkmcnt(5)
	v_add_f32_e32 v7, v7, v16
	s_waitcnt lgkmcnt(4)
	v_add_f32_e32 v9, v9, v20
	ds_bpermute_b32 v13, v14, v2
	v_cndmask_b32_e64 v2, -v2, v2, s2
	v_add_f32_e32 v5, v5, v19
	ds_bpermute_b32 v16, v6, v7
	v_xor_b32_e32 v20, 4, v11
	ds_bpermute_b32 v19, v6, v5
	s_waitcnt lgkmcnt(5)
	v_add_f32_e32 v8, v8, v17
	v_cmp_gt_i32_e64 s3, 32, v20
	s_waitcnt lgkmcnt(3)
	v_add_f32_e32 v3, v3, v12
	s_delay_alu instid0(VALU_DEP_2)
	v_cndmask_b32_e64 v12, v11, v20, s3
	s_waitcnt lgkmcnt(2)
	v_add_f32_e32 v2, v2, v13
	ds_bpermute_b32 v13, v6, v9
	v_add_f32_e32 v4, v10, v4
	v_cndmask_b32_e64 v10, -v15, v15, s2
	v_and_b32_e32 v15, 2, v0
	ds_bpermute_b32 v17, v6, v8
	v_add_f32_e32 v10, v10, v18
	v_cmp_eq_u32_e64 s2, 0, v15
	ds_bpermute_b32 v18, v6, v10
	v_cndmask_b32_e64 v9, -v9, v9, s2
	v_cndmask_b32_e64 v8, -v8, v8, s2
	;; [unrolled: 1-line block ×5, first 2 shown]
	s_waitcnt lgkmcnt(2)
	v_add_f32_e32 v9, v9, v13
	ds_bpermute_b32 v14, v6, v4
	v_cndmask_b32_e64 v4, -v4, v4, s2
	s_waitcnt lgkmcnt(2)
	v_dual_add_f32 v7, v7, v16 :: v_dual_add_f32 v8, v8, v17
	v_xor_b32_e32 v17, 8, v11
	v_dual_add_f32 v16, v5, v19 :: v_dual_and_b32 v5, 4, v0
	v_and_b32_e32 v0, 8, v0
	s_delay_alu instid0(VALU_DEP_3) | instskip(NEXT) | instid1(VALU_DEP_1)
	v_cmp_gt_i32_e64 s3, 32, v17
	v_cndmask_b32_e64 v11, v11, v17, s3
	s_waitcnt lgkmcnt(0)
	s_delay_alu instid0(VALU_DEP_1)
	v_dual_add_f32 v4, v4, v14 :: v_dual_lshlrev_b32 v17, 2, v11
	ds_bpermute_b32 v14, v6, v3
	ds_bpermute_b32 v6, v6, v2
	v_cndmask_b32_e64 v3, -v3, v3, s2
	v_lshlrev_b32_e32 v12, 2, v12
	v_cndmask_b32_e64 v2, -v2, v2, s2
	v_cmp_eq_u32_e64 s2, 0, v5
	s_waitcnt lgkmcnt(1)
	v_add_f32_e32 v3, v3, v14
	ds_bpermute_b32 v5, v12, v7
	ds_bpermute_b32 v11, v12, v16
	v_add_f32_e32 v10, v10, v18
	ds_bpermute_b32 v18, v12, v8
	ds_bpermute_b32 v13, v12, v9
	v_cndmask_b32_e64 v9, -v9, v9, s2
	s_waitcnt lgkmcnt(4)
	v_add_f32_e32 v6, v2, v6
	v_cndmask_b32_e64 v2, -v7, v7, s2
	v_cndmask_b32_e64 v7, -v8, v8, s2
	ds_bpermute_b32 v15, v12, v4
	ds_bpermute_b32 v14, v12, v3
	v_cndmask_b32_e64 v4, -v4, v4, s2
	v_cndmask_b32_e64 v3, -v3, v3, s2
	s_waitcnt lgkmcnt(3)
	v_dual_add_f32 v2, v2, v5 :: v_dual_add_f32 v5, v7, v18
	s_waitcnt lgkmcnt(2)
	v_add_f32_e32 v9, v9, v13
	v_cndmask_b32_e64 v7, -v16, v16, s2
	s_delay_alu instid0(VALU_DEP_1)
	v_add_f32_e32 v11, v7, v11
	ds_bpermute_b32 v19, v12, v10
	ds_bpermute_b32 v12, v12, v6
	v_cndmask_b32_e64 v8, -v10, v10, s2
	v_cndmask_b32_e64 v10, -v6, v6, s2
	s_waitcnt lgkmcnt(3)
	v_add_f32_e32 v4, v4, v15
	s_waitcnt lgkmcnt(2)
	v_add_f32_e32 v6, v3, v14
	v_cmp_eq_u32_e64 s2, 0, v0
	ds_bpermute_b32 v14, v17, v5
	ds_bpermute_b32 v7, v17, v6
	s_waitcnt lgkmcnt(2)
	v_dual_add_f32 v8, v8, v19 :: v_dual_add_f32 v3, v10, v12
	ds_bpermute_b32 v15, v17, v4
	v_cndmask_b32_e64 v0, -v4, v4, s2
	ds_bpermute_b32 v12, v17, v11
	ds_bpermute_b32 v13, v17, v8
	;; [unrolled: 1-line block ×4, first 2 shown]
	s_waitcnt lgkmcnt(4)
	v_add_f32_e32 v0, v0, v15
	ds_bpermute_b32 v15, v17, v2
	v_mul_f32_e32 v16, s5, v0
	s_delay_alu instid0(VALU_DEP_1) | instskip(NEXT) | instid1(VALU_DEP_1)
	v_and_b32_e32 v0, 0x7f800000, v16
	v_cmp_ne_u32_e64 s3, 0x7f800000, v0
                                        ; implicit-def: $vgpr0
	s_delay_alu instid0(VALU_DEP_1) | instskip(NEXT) | instid1(SALU_CYCLE_1)
	s_and_saveexec_b32 s6, s3
	s_xor_b32 s3, exec_lo, s6
; %bb.3:
	v_bfe_u32 v0, v16, 16, 1
	s_delay_alu instid0(VALU_DEP_1)
	v_add3_u32 v0, v16, v0, 0x7fff
                                        ; implicit-def: $vgpr16
; %bb.4:
	s_and_not1_saveexec_b32 s6, s3
; %bb.5:
	v_and_b32_e32 v0, 0xffff, v16
	v_or_b32_e32 v17, 0x10000, v16
	s_delay_alu instid0(VALU_DEP_2) | instskip(NEXT) | instid1(VALU_DEP_1)
	v_cmp_eq_u32_e64 s3, 0, v0
	v_cndmask_b32_e64 v0, v17, v16, s3
; %bb.6:
	s_or_b32 exec_lo, exec_lo, s6
	v_cndmask_b32_e64 v2, -v2, v2, s2
	s_waitcnt lgkmcnt(0)
	s_delay_alu instid0(VALU_DEP_1) | instskip(NEXT) | instid1(VALU_DEP_1)
	v_add_f32_e32 v2, v2, v15
	v_mul_f32_e32 v15, s5, v2
	s_delay_alu instid0(VALU_DEP_1) | instskip(NEXT) | instid1(VALU_DEP_1)
	v_and_b32_e32 v2, 0x7f800000, v15
	v_cmp_ne_u32_e64 s3, 0x7f800000, v2
                                        ; implicit-def: $vgpr2
	s_delay_alu instid0(VALU_DEP_1) | instskip(NEXT) | instid1(SALU_CYCLE_1)
	s_and_saveexec_b32 s6, s3
	s_xor_b32 s3, exec_lo, s6
; %bb.7:
	v_bfe_u32 v2, v15, 16, 1
	s_delay_alu instid0(VALU_DEP_1)
	v_add3_u32 v2, v15, v2, 0x7fff
                                        ; implicit-def: $vgpr15
; %bb.8:
	s_and_not1_saveexec_b32 s6, s3
; %bb.9:
	v_and_b32_e32 v2, 0xffff, v15
	v_or_b32_e32 v16, 0x10000, v15
	s_delay_alu instid0(VALU_DEP_2) | instskip(NEXT) | instid1(VALU_DEP_1)
	v_cmp_eq_u32_e64 s3, 0, v2
	v_cndmask_b32_e64 v2, v16, v15, s3
; %bb.10:
	s_or_b32 exec_lo, exec_lo, s6
	v_cndmask_b32_e64 v5, -v5, v5, s2
	s_delay_alu instid0(VALU_DEP_1) | instskip(NEXT) | instid1(VALU_DEP_1)
	v_add_f32_e32 v5, v5, v14
	v_mul_f32_e32 v14, s5, v5
	s_delay_alu instid0(VALU_DEP_1) | instskip(NEXT) | instid1(VALU_DEP_1)
	v_and_b32_e32 v5, 0x7f800000, v14
	v_cmp_ne_u32_e64 s3, 0x7f800000, v5
                                        ; implicit-def: $vgpr5
	s_delay_alu instid0(VALU_DEP_1) | instskip(NEXT) | instid1(SALU_CYCLE_1)
	s_and_saveexec_b32 s6, s3
	s_xor_b32 s3, exec_lo, s6
; %bb.11:
	v_bfe_u32 v5, v14, 16, 1
	s_delay_alu instid0(VALU_DEP_1)
	v_add3_u32 v5, v14, v5, 0x7fff
                                        ; implicit-def: $vgpr14
; %bb.12:
	s_and_not1_saveexec_b32 s6, s3
; %bb.13:
	v_and_b32_e32 v5, 0xffff, v14
	v_or_b32_e32 v15, 0x10000, v14
	s_delay_alu instid0(VALU_DEP_2) | instskip(NEXT) | instid1(VALU_DEP_1)
	v_cmp_eq_u32_e64 s3, 0, v5
	v_cndmask_b32_e64 v5, v15, v14, s3
; %bb.14:
	s_or_b32 exec_lo, exec_lo, s6
	v_cndmask_b32_e64 v8, -v8, v8, s2
	s_delay_alu instid0(VALU_DEP_1) | instskip(NEXT) | instid1(VALU_DEP_1)
	v_add_f32_e32 v8, v8, v13
	v_mul_f32_e32 v13, s5, v8
	s_delay_alu instid0(VALU_DEP_1) | instskip(NEXT) | instid1(VALU_DEP_1)
	v_and_b32_e32 v8, 0x7f800000, v13
	v_cmp_ne_u32_e64 s3, 0x7f800000, v8
                                        ; implicit-def: $vgpr8
	s_delay_alu instid0(VALU_DEP_1) | instskip(NEXT) | instid1(SALU_CYCLE_1)
	s_and_saveexec_b32 s6, s3
	s_xor_b32 s3, exec_lo, s6
; %bb.15:
	v_bfe_u32 v8, v13, 16, 1
	s_delay_alu instid0(VALU_DEP_1)
	v_add3_u32 v8, v13, v8, 0x7fff
                                        ; implicit-def: $vgpr13
; %bb.16:
	s_and_not1_saveexec_b32 s6, s3
; %bb.17:
	v_and_b32_e32 v8, 0xffff, v13
	v_or_b32_e32 v14, 0x10000, v13
	s_delay_alu instid0(VALU_DEP_2) | instskip(NEXT) | instid1(VALU_DEP_1)
	v_cmp_eq_u32_e64 s3, 0, v8
	v_cndmask_b32_e64 v8, v14, v13, s3
; %bb.18:
	s_or_b32 exec_lo, exec_lo, s6
	v_cndmask_b32_e64 v11, -v11, v11, s2
	s_delay_alu instid0(VALU_DEP_1) | instskip(NEXT) | instid1(VALU_DEP_1)
	v_add_f32_e32 v11, v11, v12
	v_mul_f32_e32 v12, s5, v11
	s_delay_alu instid0(VALU_DEP_1) | instskip(NEXT) | instid1(VALU_DEP_1)
	v_and_b32_e32 v11, 0x7f800000, v12
	v_cmp_ne_u32_e64 s3, 0x7f800000, v11
                                        ; implicit-def: $vgpr11
	s_delay_alu instid0(VALU_DEP_1) | instskip(NEXT) | instid1(SALU_CYCLE_1)
	s_and_saveexec_b32 s6, s3
	s_xor_b32 s3, exec_lo, s6
; %bb.19:
	v_bfe_u32 v11, v12, 16, 1
	s_delay_alu instid0(VALU_DEP_1)
	v_add3_u32 v11, v12, v11, 0x7fff
                                        ; implicit-def: $vgpr12
; %bb.20:
	s_and_not1_saveexec_b32 s6, s3
; %bb.21:
	v_and_b32_e32 v11, 0xffff, v12
	v_or_b32_e32 v13, 0x10000, v12
	s_delay_alu instid0(VALU_DEP_2) | instskip(NEXT) | instid1(VALU_DEP_1)
	v_cmp_eq_u32_e64 s3, 0, v11
	v_cndmask_b32_e64 v11, v13, v12, s3
; %bb.22:
	s_or_b32 exec_lo, exec_lo, s6
	v_cndmask_b32_e64 v9, -v9, v9, s2
	s_delay_alu instid0(VALU_DEP_1) | instskip(NEXT) | instid1(VALU_DEP_1)
	v_add_f32_e32 v9, v9, v10
	v_mul_f32_e32 v10, s5, v9
	s_delay_alu instid0(VALU_DEP_1) | instskip(NEXT) | instid1(VALU_DEP_1)
	v_and_b32_e32 v9, 0x7f800000, v10
	v_cmp_ne_u32_e64 s3, 0x7f800000, v9
                                        ; implicit-def: $vgpr9
	s_delay_alu instid0(VALU_DEP_1) | instskip(NEXT) | instid1(SALU_CYCLE_1)
	s_and_saveexec_b32 s6, s3
	s_xor_b32 s3, exec_lo, s6
; %bb.23:
	v_bfe_u32 v9, v10, 16, 1
	s_delay_alu instid0(VALU_DEP_1)
	v_add3_u32 v9, v10, v9, 0x7fff
                                        ; implicit-def: $vgpr10
; %bb.24:
	s_and_not1_saveexec_b32 s6, s3
; %bb.25:
	v_and_b32_e32 v9, 0xffff, v10
	v_or_b32_e32 v12, 0x10000, v10
	s_delay_alu instid0(VALU_DEP_2) | instskip(NEXT) | instid1(VALU_DEP_1)
	v_cmp_eq_u32_e64 s3, 0, v9
	v_cndmask_b32_e64 v9, v12, v10, s3
; %bb.26:
	s_or_b32 exec_lo, exec_lo, s6
	v_cndmask_b32_e64 v6, -v6, v6, s2
	s_delay_alu instid0(VALU_DEP_1) | instskip(NEXT) | instid1(VALU_DEP_1)
	v_add_f32_e32 v6, v6, v7
	v_mul_f32_e32 v7, s5, v6
	s_delay_alu instid0(VALU_DEP_1) | instskip(NEXT) | instid1(VALU_DEP_1)
	v_and_b32_e32 v6, 0x7f800000, v7
	v_cmp_ne_u32_e64 s3, 0x7f800000, v6
                                        ; implicit-def: $vgpr6
	s_delay_alu instid0(VALU_DEP_1) | instskip(NEXT) | instid1(SALU_CYCLE_1)
	s_and_saveexec_b32 s6, s3
	s_xor_b32 s3, exec_lo, s6
; %bb.27:
	v_bfe_u32 v6, v7, 16, 1
	s_delay_alu instid0(VALU_DEP_1)
	v_add3_u32 v6, v7, v6, 0x7fff
                                        ; implicit-def: $vgpr7
; %bb.28:
	s_and_not1_saveexec_b32 s6, s3
; %bb.29:
	v_and_b32_e32 v6, 0xffff, v7
	v_or_b32_e32 v10, 0x10000, v7
	s_delay_alu instid0(VALU_DEP_2) | instskip(NEXT) | instid1(VALU_DEP_1)
	v_cmp_eq_u32_e64 s3, 0, v6
	v_cndmask_b32_e64 v6, v10, v7, s3
; %bb.30:
	s_or_b32 exec_lo, exec_lo, s6
	v_cndmask_b32_e64 v3, -v3, v3, s2
	s_delay_alu instid0(VALU_DEP_1) | instskip(NEXT) | instid1(VALU_DEP_1)
	v_add_f32_e32 v3, v3, v4
	v_mul_f32_e32 v4, s5, v3
	s_delay_alu instid0(VALU_DEP_1) | instskip(NEXT) | instid1(VALU_DEP_1)
	v_and_b32_e32 v3, 0x7f800000, v4
	v_cmp_ne_u32_e64 s2, 0x7f800000, v3
                                        ; implicit-def: $vgpr3
	s_delay_alu instid0(VALU_DEP_1) | instskip(NEXT) | instid1(SALU_CYCLE_1)
	s_and_saveexec_b32 s3, s2
	s_xor_b32 s2, exec_lo, s3
	s_cbranch_execnz .LBB30_34
; %bb.31:
	s_and_not1_saveexec_b32 s3, s2
	s_cbranch_execnz .LBB30_35
.LBB30_32:
	s_or_b32 exec_lo, exec_lo, s3
	s_and_saveexec_b32 s2, vcc_lo
	s_cbranch_execnz .LBB30_36
.LBB30_33:
	s_endpgm
.LBB30_34:
	v_bfe_u32 v3, v4, 16, 1
	s_delay_alu instid0(VALU_DEP_1)
	v_add3_u32 v3, v4, v3, 0x7fff
                                        ; implicit-def: $vgpr4
	s_and_not1_saveexec_b32 s3, s2
	s_cbranch_execz .LBB30_32
.LBB30_35:
	v_and_b32_e32 v3, 0xffff, v4
	v_or_b32_e32 v7, 0x10000, v4
	s_delay_alu instid0(VALU_DEP_2) | instskip(NEXT) | instid1(VALU_DEP_1)
	v_cmp_eq_u32_e64 s2, 0, v3
	v_cndmask_b32_e64 v3, v7, v4, s2
	s_or_b32 exec_lo, exec_lo, s3
	s_and_saveexec_b32 s2, vcc_lo
	s_cbranch_execz .LBB30_33
.LBB30_36:
	s_clause 0x1
	s_load_b64 s[2:3], s[0:1], 0x18
	s_load_b64 s[0:1], s[0:1], 0x30
	v_perm_b32 v7, v3, v6, 0x7060302
	v_perm_b32 v6, v9, v11, 0x7060302
	;; [unrolled: 1-line block ×4, first 2 shown]
	s_waitcnt lgkmcnt(0)
	s_mul_i32 s4, s2, s4
	s_mul_hi_u32 s5, s2, s15
	s_mul_i32 s3, s3, s15
	s_add_i32 s4, s5, s4
	s_mul_i32 s2, s2, s15
	s_add_i32 s3, s4, s3
	s_delay_alu instid0(SALU_CYCLE_1) | instskip(NEXT) | instid1(SALU_CYCLE_1)
	s_lshl_b64 s[2:3], s[2:3], 1
	s_add_u32 s0, s0, s2
	s_addc_u32 s1, s1, s3
	global_store_b128 v1, v[4:7], s[0:1]
	s_nop 0
	s_sendmsg sendmsg(MSG_DEALLOC_VGPRS)
	s_endpgm
	.section	.rodata,"a",@progbits
	.p2align	6, 0x0
	.amdhsa_kernel _Z30fast_hadamard_transform_kernelI37fast_hadamard_transform_kernel_traitsILi16ELi7E14__hip_bfloat16EEv18HadamardParamsBase
		.amdhsa_group_segment_fixed_size 0
		.amdhsa_private_segment_fixed_size 0
		.amdhsa_kernarg_size 56
		.amdhsa_user_sgpr_count 15
		.amdhsa_user_sgpr_dispatch_ptr 0
		.amdhsa_user_sgpr_queue_ptr 0
		.amdhsa_user_sgpr_kernarg_segment_ptr 1
		.amdhsa_user_sgpr_dispatch_id 0
		.amdhsa_user_sgpr_private_segment_size 0
		.amdhsa_wavefront_size32 1
		.amdhsa_uses_dynamic_stack 0
		.amdhsa_enable_private_segment 0
		.amdhsa_system_sgpr_workgroup_id_x 1
		.amdhsa_system_sgpr_workgroup_id_y 0
		.amdhsa_system_sgpr_workgroup_id_z 0
		.amdhsa_system_sgpr_workgroup_info 0
		.amdhsa_system_vgpr_workitem_id 0
		.amdhsa_next_free_vgpr 22
		.amdhsa_next_free_sgpr 16
		.amdhsa_reserve_vcc 1
		.amdhsa_float_round_mode_32 0
		.amdhsa_float_round_mode_16_64 0
		.amdhsa_float_denorm_mode_32 3
		.amdhsa_float_denorm_mode_16_64 3
		.amdhsa_dx10_clamp 1
		.amdhsa_ieee_mode 1
		.amdhsa_fp16_overflow 0
		.amdhsa_workgroup_processor_mode 1
		.amdhsa_memory_ordered 1
		.amdhsa_forward_progress 0
		.amdhsa_shared_vgpr_count 0
		.amdhsa_exception_fp_ieee_invalid_op 0
		.amdhsa_exception_fp_denorm_src 0
		.amdhsa_exception_fp_ieee_div_zero 0
		.amdhsa_exception_fp_ieee_overflow 0
		.amdhsa_exception_fp_ieee_underflow 0
		.amdhsa_exception_fp_ieee_inexact 0
		.amdhsa_exception_int_div_zero 0
	.end_amdhsa_kernel
	.section	.text._Z30fast_hadamard_transform_kernelI37fast_hadamard_transform_kernel_traitsILi16ELi7E14__hip_bfloat16EEv18HadamardParamsBase,"axG",@progbits,_Z30fast_hadamard_transform_kernelI37fast_hadamard_transform_kernel_traitsILi16ELi7E14__hip_bfloat16EEv18HadamardParamsBase,comdat
.Lfunc_end30:
	.size	_Z30fast_hadamard_transform_kernelI37fast_hadamard_transform_kernel_traitsILi16ELi7E14__hip_bfloat16EEv18HadamardParamsBase, .Lfunc_end30-_Z30fast_hadamard_transform_kernelI37fast_hadamard_transform_kernel_traitsILi16ELi7E14__hip_bfloat16EEv18HadamardParamsBase
                                        ; -- End function
	.section	.AMDGPU.csdata,"",@progbits
; Kernel info:
; codeLenInByte = 2264
; NumSgprs: 18
; NumVgprs: 22
; ScratchSize: 0
; MemoryBound: 0
; FloatMode: 240
; IeeeMode: 1
; LDSByteSize: 0 bytes/workgroup (compile time only)
; SGPRBlocks: 2
; VGPRBlocks: 2
; NumSGPRsForWavesPerEU: 18
; NumVGPRsForWavesPerEU: 22
; Occupancy: 16
; WaveLimiterHint : 0
; COMPUTE_PGM_RSRC2:SCRATCH_EN: 0
; COMPUTE_PGM_RSRC2:USER_SGPR: 15
; COMPUTE_PGM_RSRC2:TRAP_HANDLER: 0
; COMPUTE_PGM_RSRC2:TGID_X_EN: 1
; COMPUTE_PGM_RSRC2:TGID_Y_EN: 0
; COMPUTE_PGM_RSRC2:TGID_Z_EN: 0
; COMPUTE_PGM_RSRC2:TIDIG_COMP_CNT: 0
	.section	.text._Z30fast_hadamard_transform_kernelI37fast_hadamard_transform_kernel_traitsILi32ELi8E14__hip_bfloat16EEv18HadamardParamsBase,"axG",@progbits,_Z30fast_hadamard_transform_kernelI37fast_hadamard_transform_kernel_traitsILi32ELi8E14__hip_bfloat16EEv18HadamardParamsBase,comdat
	.protected	_Z30fast_hadamard_transform_kernelI37fast_hadamard_transform_kernel_traitsILi32ELi8E14__hip_bfloat16EEv18HadamardParamsBase ; -- Begin function _Z30fast_hadamard_transform_kernelI37fast_hadamard_transform_kernel_traitsILi32ELi8E14__hip_bfloat16EEv18HadamardParamsBase
	.globl	_Z30fast_hadamard_transform_kernelI37fast_hadamard_transform_kernel_traitsILi32ELi8E14__hip_bfloat16EEv18HadamardParamsBase
	.p2align	8
	.type	_Z30fast_hadamard_transform_kernelI37fast_hadamard_transform_kernel_traitsILi32ELi8E14__hip_bfloat16EEv18HadamardParamsBase,@function
_Z30fast_hadamard_transform_kernelI37fast_hadamard_transform_kernel_traitsILi32ELi8E14__hip_bfloat16EEv18HadamardParamsBase: ; @_Z30fast_hadamard_transform_kernelI37fast_hadamard_transform_kernel_traitsILi32ELi8E14__hip_bfloat16EEv18HadamardParamsBase
; %bb.0:
	s_clause 0x1
	s_load_b32 s2, s[0:1], 0x4
	s_load_b32 s5, s[0:1], 0x20
	v_dual_mov_b32 v6, 0 :: v_dual_lshlrev_b32 v9, 3, v0
	v_dual_mov_b32 v2, 0 :: v_dual_mov_b32 v3, 0
	v_dual_mov_b32 v4, 0 :: v_dual_mov_b32 v5, 0
	;; [unrolled: 1-line block ×3, first 2 shown]
	v_lshlrev_b32_e32 v1, 4, v0
	s_ashr_i32 s4, s15, 31
	s_waitcnt lgkmcnt(0)
	v_cmp_gt_u32_e32 vcc_lo, s2, v9
	v_mov_b32_e32 v9, 0
	s_and_saveexec_b32 s2, vcc_lo
	s_cbranch_execz .LBB31_2
; %bb.1:
	s_clause 0x1
	s_load_b64 s[6:7], s[0:1], 0x10
	s_load_b64 s[8:9], s[0:1], 0x28
	s_waitcnt lgkmcnt(0)
	s_mul_i32 s3, s6, s4
	s_mul_hi_u32 s10, s6, s15
	s_mul_i32 s7, s7, s15
	s_add_i32 s3, s10, s3
	s_mul_i32 s6, s6, s15
	s_add_i32 s7, s3, s7
	s_delay_alu instid0(SALU_CYCLE_1) | instskip(NEXT) | instid1(SALU_CYCLE_1)
	s_lshl_b64 s[6:7], s[6:7], 1
	s_add_u32 s6, s8, s6
	s_addc_u32 s7, s9, s7
	global_load_b128 v[10:13], v1, s[6:7]
	s_waitcnt vmcnt(0)
	v_and_b32_e32 v9, 0xffff0000, v10
	v_lshlrev_b32_e32 v8, 16, v10
	v_and_b32_e32 v7, 0xffff0000, v11
	v_lshlrev_b32_e32 v6, 16, v11
	;; [unrolled: 2-line block ×4, first 2 shown]
.LBB31_2:
	s_or_b32 exec_lo, exec_lo, s2
	v_mbcnt_lo_u32_b32 v11, -1, 0
	v_add_f32_e32 v10, v9, v8
	v_dual_sub_f32 v8, v8, v9 :: v_dual_add_f32 v9, v7, v6
	v_sub_f32_e32 v6, v6, v7
	s_delay_alu instid0(VALU_DEP_4) | instskip(SKIP_2) | instid1(VALU_DEP_3)
	v_xor_b32_e32 v12, 1, v11
	v_dual_add_f32 v7, v5, v4 :: v_dual_sub_f32 v4, v4, v5
	v_dual_add_f32 v5, v3, v2 :: v_dual_sub_f32 v2, v2, v3
	v_cmp_gt_i32_e64 s2, 32, v12
	v_add_f32_e32 v3, v9, v10
	s_delay_alu instid0(VALU_DEP_3) | instskip(SKIP_1) | instid1(VALU_DEP_4)
	v_dual_add_f32 v13, v6, v8 :: v_dual_add_f32 v14, v5, v7
	v_sub_f32_e32 v5, v7, v5
	v_cndmask_b32_e64 v12, v11, v12, s2
	v_dual_add_f32 v15, v2, v4 :: v_dual_sub_f32 v6, v8, v6
	v_dual_sub_f32 v9, v10, v9 :: v_dual_sub_f32 v2, v4, v2
	s_delay_alu instid0(VALU_DEP_3) | instskip(NEXT) | instid1(VALU_DEP_3)
	v_lshlrev_b32_e32 v12, 2, v12
	v_dual_add_f32 v16, v15, v13 :: v_dual_sub_f32 v13, v13, v15
	v_dual_add_f32 v10, v14, v3 :: v_dual_sub_f32 v3, v3, v14
	s_delay_alu instid0(VALU_DEP_4)
	v_add_f32_e32 v17, v2, v6
	ds_bpermute_b32 v7, v12, v16
	v_and_b32_e32 v14, 1, v0
	v_add_f32_e32 v8, v5, v9
	ds_bpermute_b32 v19, v12, v3
	v_sub_f32_e32 v5, v9, v5
	ds_bpermute_b32 v4, v12, v10
	v_cmp_eq_u32_e64 s2, 0, v14
	v_xor_b32_e32 v20, 2, v11
	ds_bpermute_b32 v14, v12, v13
	ds_bpermute_b32 v18, v12, v17
	v_xor_b32_e32 v21, 4, v11
	v_cndmask_b32_e64 v9, -v10, v10, s2
	v_cndmask_b32_e64 v10, -v16, v16, s2
	v_cmp_gt_i32_e64 s3, 32, v20
	v_cndmask_b32_e64 v3, -v3, v3, s2
	v_sub_f32_e32 v2, v6, v2
	v_cndmask_b32_e64 v13, -v13, v13, s2
	s_delay_alu instid0(VALU_DEP_4)
	v_cndmask_b32_e64 v6, v11, v20, s3
	v_cmp_gt_i32_e64 s3, 32, v21
	s_waitcnt lgkmcnt(4)
	v_add_f32_e32 v7, v10, v7
	ds_bpermute_b32 v15, v12, v8
	v_cndmask_b32_e64 v8, -v8, v8, s2
	s_waitcnt lgkmcnt(4)
	v_dual_add_f32 v3, v3, v19 :: v_dual_lshlrev_b32 v6, 2, v6
	ds_bpermute_b32 v10, v12, v5
	ds_bpermute_b32 v12, v12, v2
	v_cndmask_b32_e64 v5, -v5, v5, s2
	s_waitcnt lgkmcnt(4)
	v_dual_add_f32 v13, v13, v14 :: v_dual_and_b32 v14, 2, v0
	ds_bpermute_b32 v19, v6, v3
	v_cndmask_b32_e64 v2, -v2, v2, s2
	s_waitcnt lgkmcnt(3)
	v_add_f32_e32 v8, v8, v15
	ds_bpermute_b32 v15, v6, v7
	v_add_f32_e32 v4, v9, v4
	v_cndmask_b32_e64 v9, -v17, v17, s2
	v_cmp_eq_u32_e64 s2, 0, v14
	s_waitcnt lgkmcnt(2)
	v_dual_add_f32 v5, v5, v10 :: v_dual_add_f32 v2, v2, v12
	v_cndmask_b32_e64 v10, v11, v21, s3
	v_add_f32_e32 v9, v9, v18
	v_cndmask_b32_e64 v3, -v3, v3, s2
	v_cndmask_b32_e64 v7, -v7, v7, s2
	s_waitcnt lgkmcnt(1)
	s_delay_alu instid0(VALU_DEP_2)
	v_add_f32_e32 v3, v3, v19
	ds_bpermute_b32 v17, v6, v8
	ds_bpermute_b32 v20, v6, v13
	ds_bpermute_b32 v18, v6, v9
	v_cndmask_b32_e64 v8, -v8, v8, s2
	ds_bpermute_b32 v12, v6, v5
	v_cndmask_b32_e64 v13, -v13, v13, s2
	s_waitcnt lgkmcnt(4)
	v_add_f32_e32 v7, v7, v15
	ds_bpermute_b32 v16, v6, v4
	v_cndmask_b32_e64 v4, -v4, v4, s2
	v_lshlrev_b32_e32 v10, 2, v10
	v_cndmask_b32_e64 v9, -v9, v9, s2
	ds_bpermute_b32 v6, v6, v2
	v_cndmask_b32_e64 v5, -v5, v5, s2
	v_and_b32_e32 v15, 4, v0
	v_cndmask_b32_e64 v2, -v2, v2, s2
	s_delay_alu instid0(VALU_DEP_2)
	v_cmp_eq_u32_e64 s2, 0, v15
	s_waitcnt lgkmcnt(4)
	v_dual_add_f32 v8, v8, v17 :: v_dual_add_f32 v13, v13, v20
	ds_bpermute_b32 v19, v10, v3
	s_waitcnt lgkmcnt(4)
	v_add_f32_e32 v9, v9, v18
	v_xor_b32_e32 v20, 8, v11
	ds_bpermute_b32 v17, v10, v8
	s_waitcnt lgkmcnt(4)
	v_add_f32_e32 v5, v5, v12
	s_waitcnt lgkmcnt(3)
	v_add_f32_e32 v4, v4, v16
	ds_bpermute_b32 v16, v10, v7
	v_cndmask_b32_e64 v8, -v8, v8, s2
	ds_bpermute_b32 v12, v10, v13
	ds_bpermute_b32 v18, v10, v9
	;; [unrolled: 1-line block ×3, first 2 shown]
	v_cndmask_b32_e64 v4, -v4, v4, s2
	v_cmp_gt_i32_e64 s3, 32, v20
	v_cndmask_b32_e64 v9, -v9, v9, s2
	s_waitcnt lgkmcnt(6)
	v_add_f32_e32 v2, v2, v6
	v_cndmask_b32_e64 v7, -v7, v7, s2
	v_cndmask_b32_e64 v3, -v3, v3, s2
	v_cndmask_b32_e64 v6, v11, v20, s3
	v_cndmask_b32_e64 v13, -v13, v13, s2
	s_waitcnt lgkmcnt(5)
	s_delay_alu instid0(VALU_DEP_2)
	v_dual_add_f32 v3, v3, v19 :: v_dual_lshlrev_b32 v6, 2, v6
	s_waitcnt lgkmcnt(4)
	v_add_f32_e32 v8, v8, v17
	v_xor_b32_e32 v17, 16, v11
	s_waitcnt lgkmcnt(3)
	v_add_f32_e32 v7, v7, v16
	s_waitcnt lgkmcnt(1)
	v_add_f32_e32 v9, v9, v18
	;; [unrolled: 2-line block ×3, first 2 shown]
	ds_bpermute_b32 v14, v10, v5
	v_cmp_gt_i32_e64 s3, 32, v17
	ds_bpermute_b32 v10, v10, v2
	v_cndmask_b32_e64 v5, -v5, v5, s2
	ds_bpermute_b32 v15, v6, v4
	v_and_b32_e32 v16, 8, v0
	v_cndmask_b32_e64 v11, v11, v17, s3
	v_add_f32_e32 v12, v13, v12
	ds_bpermute_b32 v18, v6, v8
	v_cndmask_b32_e64 v2, -v2, v2, s2
	ds_bpermute_b32 v19, v6, v9
	v_lshlrev_b32_e32 v17, 2, v11
	ds_bpermute_b32 v11, v6, v3
	s_waitcnt lgkmcnt(5)
	v_add_f32_e32 v13, v5, v14
	v_cmp_eq_u32_e64 s2, 0, v16
	ds_bpermute_b32 v14, v6, v12
	ds_bpermute_b32 v16, v6, v7
	v_cndmask_b32_e64 v4, -v4, v4, s2
	v_cndmask_b32_e64 v3, -v3, v3, s2
	s_waitcnt lgkmcnt(6)
	v_add_f32_e32 v10, v2, v10
	v_cndmask_b32_e64 v5, -v8, v8, s2
	v_cndmask_b32_e64 v2, -v7, v7, s2
	s_waitcnt lgkmcnt(5)
	v_add_f32_e32 v4, v4, v15
	ds_bpermute_b32 v15, v6, v13
	s_waitcnt lgkmcnt(3)
	v_add_f32_e32 v11, v3, v11
	v_add_f32_e32 v5, v5, v18
	ds_bpermute_b32 v20, v6, v10
	ds_bpermute_b32 v21, v17, v4
	v_cndmask_b32_e64 v6, -v9, v9, s2
	v_cndmask_b32_e64 v7, -v13, v13, s2
	;; [unrolled: 1-line block ×3, first 2 shown]
	s_delay_alu instid0(VALU_DEP_3)
	v_add_f32_e32 v8, v6, v19
	v_cndmask_b32_e64 v6, -v12, v12, s2
	v_and_b32_e32 v0, 16, v0
	s_waitcnt lgkmcnt(3)
	v_add_f32_e32 v2, v2, v16
	ds_bpermute_b32 v12, v17, v11
	ds_bpermute_b32 v13, v17, v8
	v_add_f32_e32 v9, v6, v14
	v_cmp_eq_u32_e64 s2, 0, v0
	ds_bpermute_b32 v14, v17, v5
	s_waitcnt lgkmcnt(5)
	v_add_f32_e32 v6, v7, v15
	ds_bpermute_b32 v15, v17, v2
	v_cndmask_b32_e64 v0, -v4, v4, s2
	s_waitcnt lgkmcnt(5)
	v_add_f32_e32 v3, v10, v20
	ds_bpermute_b32 v10, v17, v9
	ds_bpermute_b32 v7, v17, v6
	s_waitcnt lgkmcnt(6)
	v_add_f32_e32 v0, v0, v21
	ds_bpermute_b32 v4, v17, v3
	v_mul_f32_e32 v16, s5, v0
	s_delay_alu instid0(VALU_DEP_1) | instskip(NEXT) | instid1(VALU_DEP_1)
	v_and_b32_e32 v0, 0x7f800000, v16
	v_cmp_ne_u32_e64 s3, 0x7f800000, v0
                                        ; implicit-def: $vgpr0
	s_delay_alu instid0(VALU_DEP_1) | instskip(NEXT) | instid1(SALU_CYCLE_1)
	s_and_saveexec_b32 s6, s3
	s_xor_b32 s3, exec_lo, s6
; %bb.3:
	v_bfe_u32 v0, v16, 16, 1
	s_delay_alu instid0(VALU_DEP_1)
	v_add3_u32 v0, v16, v0, 0x7fff
                                        ; implicit-def: $vgpr16
; %bb.4:
	s_and_not1_saveexec_b32 s6, s3
; %bb.5:
	v_and_b32_e32 v0, 0xffff, v16
	v_or_b32_e32 v17, 0x10000, v16
	s_delay_alu instid0(VALU_DEP_2) | instskip(NEXT) | instid1(VALU_DEP_1)
	v_cmp_eq_u32_e64 s3, 0, v0
	v_cndmask_b32_e64 v0, v17, v16, s3
; %bb.6:
	s_or_b32 exec_lo, exec_lo, s6
	v_cndmask_b32_e64 v2, -v2, v2, s2
	s_waitcnt lgkmcnt(3)
	s_delay_alu instid0(VALU_DEP_1) | instskip(NEXT) | instid1(VALU_DEP_1)
	v_add_f32_e32 v2, v2, v15
	v_mul_f32_e32 v15, s5, v2
	s_delay_alu instid0(VALU_DEP_1) | instskip(NEXT) | instid1(VALU_DEP_1)
	v_and_b32_e32 v2, 0x7f800000, v15
	v_cmp_ne_u32_e64 s3, 0x7f800000, v2
                                        ; implicit-def: $vgpr2
	s_delay_alu instid0(VALU_DEP_1) | instskip(NEXT) | instid1(SALU_CYCLE_1)
	s_and_saveexec_b32 s6, s3
	s_xor_b32 s3, exec_lo, s6
; %bb.7:
	v_bfe_u32 v2, v15, 16, 1
	s_delay_alu instid0(VALU_DEP_1)
	v_add3_u32 v2, v15, v2, 0x7fff
                                        ; implicit-def: $vgpr15
; %bb.8:
	s_and_not1_saveexec_b32 s6, s3
; %bb.9:
	v_and_b32_e32 v2, 0xffff, v15
	v_or_b32_e32 v16, 0x10000, v15
	s_delay_alu instid0(VALU_DEP_2) | instskip(NEXT) | instid1(VALU_DEP_1)
	v_cmp_eq_u32_e64 s3, 0, v2
	v_cndmask_b32_e64 v2, v16, v15, s3
; %bb.10:
	s_or_b32 exec_lo, exec_lo, s6
	v_cndmask_b32_e64 v5, -v5, v5, s2
	s_delay_alu instid0(VALU_DEP_1) | instskip(NEXT) | instid1(VALU_DEP_1)
	v_add_f32_e32 v5, v5, v14
	v_mul_f32_e32 v14, s5, v5
	s_delay_alu instid0(VALU_DEP_1) | instskip(NEXT) | instid1(VALU_DEP_1)
	v_and_b32_e32 v5, 0x7f800000, v14
	v_cmp_ne_u32_e64 s3, 0x7f800000, v5
                                        ; implicit-def: $vgpr5
	s_delay_alu instid0(VALU_DEP_1) | instskip(NEXT) | instid1(SALU_CYCLE_1)
	s_and_saveexec_b32 s6, s3
	s_xor_b32 s3, exec_lo, s6
; %bb.11:
	v_bfe_u32 v5, v14, 16, 1
	s_delay_alu instid0(VALU_DEP_1)
	v_add3_u32 v5, v14, v5, 0x7fff
                                        ; implicit-def: $vgpr14
; %bb.12:
	s_and_not1_saveexec_b32 s6, s3
; %bb.13:
	v_and_b32_e32 v5, 0xffff, v14
	v_or_b32_e32 v15, 0x10000, v14
	s_delay_alu instid0(VALU_DEP_2) | instskip(NEXT) | instid1(VALU_DEP_1)
	v_cmp_eq_u32_e64 s3, 0, v5
	v_cndmask_b32_e64 v5, v15, v14, s3
; %bb.14:
	s_or_b32 exec_lo, exec_lo, s6
	v_cndmask_b32_e64 v8, -v8, v8, s2
	s_delay_alu instid0(VALU_DEP_1) | instskip(NEXT) | instid1(VALU_DEP_1)
	v_add_f32_e32 v8, v8, v13
	v_mul_f32_e32 v13, s5, v8
	s_delay_alu instid0(VALU_DEP_1) | instskip(NEXT) | instid1(VALU_DEP_1)
	v_and_b32_e32 v8, 0x7f800000, v13
	v_cmp_ne_u32_e64 s3, 0x7f800000, v8
                                        ; implicit-def: $vgpr8
	s_delay_alu instid0(VALU_DEP_1) | instskip(NEXT) | instid1(SALU_CYCLE_1)
	s_and_saveexec_b32 s6, s3
	s_xor_b32 s3, exec_lo, s6
; %bb.15:
	v_bfe_u32 v8, v13, 16, 1
	s_delay_alu instid0(VALU_DEP_1)
	v_add3_u32 v8, v13, v8, 0x7fff
                                        ; implicit-def: $vgpr13
; %bb.16:
	s_and_not1_saveexec_b32 s6, s3
; %bb.17:
	v_and_b32_e32 v8, 0xffff, v13
	v_or_b32_e32 v14, 0x10000, v13
	s_delay_alu instid0(VALU_DEP_2) | instskip(NEXT) | instid1(VALU_DEP_1)
	v_cmp_eq_u32_e64 s3, 0, v8
	v_cndmask_b32_e64 v8, v14, v13, s3
; %bb.18:
	s_or_b32 exec_lo, exec_lo, s6
	v_cndmask_b32_e64 v11, -v11, v11, s2
	s_delay_alu instid0(VALU_DEP_1) | instskip(NEXT) | instid1(VALU_DEP_1)
	v_add_f32_e32 v11, v11, v12
	v_mul_f32_e32 v12, s5, v11
	s_delay_alu instid0(VALU_DEP_1) | instskip(NEXT) | instid1(VALU_DEP_1)
	v_and_b32_e32 v11, 0x7f800000, v12
	v_cmp_ne_u32_e64 s3, 0x7f800000, v11
                                        ; implicit-def: $vgpr11
	s_delay_alu instid0(VALU_DEP_1) | instskip(NEXT) | instid1(SALU_CYCLE_1)
	s_and_saveexec_b32 s6, s3
	s_xor_b32 s3, exec_lo, s6
; %bb.19:
	v_bfe_u32 v11, v12, 16, 1
	s_delay_alu instid0(VALU_DEP_1)
	v_add3_u32 v11, v12, v11, 0x7fff
                                        ; implicit-def: $vgpr12
; %bb.20:
	s_and_not1_saveexec_b32 s6, s3
; %bb.21:
	v_and_b32_e32 v11, 0xffff, v12
	v_or_b32_e32 v13, 0x10000, v12
	s_delay_alu instid0(VALU_DEP_2) | instskip(NEXT) | instid1(VALU_DEP_1)
	v_cmp_eq_u32_e64 s3, 0, v11
	v_cndmask_b32_e64 v11, v13, v12, s3
; %bb.22:
	s_or_b32 exec_lo, exec_lo, s6
	v_cndmask_b32_e64 v9, -v9, v9, s2
	s_waitcnt lgkmcnt(2)
	s_delay_alu instid0(VALU_DEP_1) | instskip(NEXT) | instid1(VALU_DEP_1)
	v_add_f32_e32 v9, v9, v10
	v_mul_f32_e32 v10, s5, v9
	s_delay_alu instid0(VALU_DEP_1) | instskip(NEXT) | instid1(VALU_DEP_1)
	v_and_b32_e32 v9, 0x7f800000, v10
	v_cmp_ne_u32_e64 s3, 0x7f800000, v9
                                        ; implicit-def: $vgpr9
	s_delay_alu instid0(VALU_DEP_1) | instskip(NEXT) | instid1(SALU_CYCLE_1)
	s_and_saveexec_b32 s6, s3
	s_xor_b32 s3, exec_lo, s6
; %bb.23:
	v_bfe_u32 v9, v10, 16, 1
	s_delay_alu instid0(VALU_DEP_1)
	v_add3_u32 v9, v10, v9, 0x7fff
                                        ; implicit-def: $vgpr10
; %bb.24:
	s_and_not1_saveexec_b32 s6, s3
; %bb.25:
	v_and_b32_e32 v9, 0xffff, v10
	v_or_b32_e32 v12, 0x10000, v10
	s_delay_alu instid0(VALU_DEP_2) | instskip(NEXT) | instid1(VALU_DEP_1)
	v_cmp_eq_u32_e64 s3, 0, v9
	v_cndmask_b32_e64 v9, v12, v10, s3
; %bb.26:
	s_or_b32 exec_lo, exec_lo, s6
	v_cndmask_b32_e64 v6, -v6, v6, s2
	s_waitcnt lgkmcnt(1)
	s_delay_alu instid0(VALU_DEP_1) | instskip(NEXT) | instid1(VALU_DEP_1)
	v_add_f32_e32 v6, v6, v7
	v_mul_f32_e32 v7, s5, v6
	s_delay_alu instid0(VALU_DEP_1) | instskip(NEXT) | instid1(VALU_DEP_1)
	v_and_b32_e32 v6, 0x7f800000, v7
	v_cmp_ne_u32_e64 s3, 0x7f800000, v6
                                        ; implicit-def: $vgpr6
	s_delay_alu instid0(VALU_DEP_1) | instskip(NEXT) | instid1(SALU_CYCLE_1)
	s_and_saveexec_b32 s6, s3
	s_xor_b32 s3, exec_lo, s6
; %bb.27:
	v_bfe_u32 v6, v7, 16, 1
	s_delay_alu instid0(VALU_DEP_1)
	v_add3_u32 v6, v7, v6, 0x7fff
                                        ; implicit-def: $vgpr7
; %bb.28:
	s_and_not1_saveexec_b32 s6, s3
; %bb.29:
	v_and_b32_e32 v6, 0xffff, v7
	v_or_b32_e32 v10, 0x10000, v7
	s_delay_alu instid0(VALU_DEP_2) | instskip(NEXT) | instid1(VALU_DEP_1)
	v_cmp_eq_u32_e64 s3, 0, v6
	v_cndmask_b32_e64 v6, v10, v7, s3
; %bb.30:
	s_or_b32 exec_lo, exec_lo, s6
	v_cndmask_b32_e64 v3, -v3, v3, s2
	s_waitcnt lgkmcnt(0)
	s_delay_alu instid0(VALU_DEP_1) | instskip(NEXT) | instid1(VALU_DEP_1)
	v_add_f32_e32 v3, v3, v4
	v_mul_f32_e32 v4, s5, v3
	s_delay_alu instid0(VALU_DEP_1) | instskip(NEXT) | instid1(VALU_DEP_1)
	v_and_b32_e32 v3, 0x7f800000, v4
	v_cmp_ne_u32_e64 s2, 0x7f800000, v3
                                        ; implicit-def: $vgpr3
	s_delay_alu instid0(VALU_DEP_1) | instskip(NEXT) | instid1(SALU_CYCLE_1)
	s_and_saveexec_b32 s3, s2
	s_xor_b32 s2, exec_lo, s3
	s_cbranch_execnz .LBB31_34
; %bb.31:
	s_and_not1_saveexec_b32 s3, s2
	s_cbranch_execnz .LBB31_35
.LBB31_32:
	s_or_b32 exec_lo, exec_lo, s3
	s_and_saveexec_b32 s2, vcc_lo
	s_cbranch_execnz .LBB31_36
.LBB31_33:
	s_endpgm
.LBB31_34:
	v_bfe_u32 v3, v4, 16, 1
	s_delay_alu instid0(VALU_DEP_1)
	v_add3_u32 v3, v4, v3, 0x7fff
                                        ; implicit-def: $vgpr4
	s_and_not1_saveexec_b32 s3, s2
	s_cbranch_execz .LBB31_32
.LBB31_35:
	v_and_b32_e32 v3, 0xffff, v4
	v_or_b32_e32 v7, 0x10000, v4
	s_delay_alu instid0(VALU_DEP_2) | instskip(NEXT) | instid1(VALU_DEP_1)
	v_cmp_eq_u32_e64 s2, 0, v3
	v_cndmask_b32_e64 v3, v7, v4, s2
	s_or_b32 exec_lo, exec_lo, s3
	s_and_saveexec_b32 s2, vcc_lo
	s_cbranch_execz .LBB31_33
.LBB31_36:
	s_clause 0x1
	s_load_b64 s[2:3], s[0:1], 0x18
	s_load_b64 s[0:1], s[0:1], 0x30
	v_perm_b32 v7, v3, v6, 0x7060302
	v_perm_b32 v6, v9, v11, 0x7060302
	;; [unrolled: 1-line block ×4, first 2 shown]
	s_waitcnt lgkmcnt(0)
	s_mul_i32 s4, s2, s4
	s_mul_hi_u32 s5, s2, s15
	s_mul_i32 s3, s3, s15
	s_add_i32 s4, s5, s4
	s_mul_i32 s2, s2, s15
	s_add_i32 s3, s4, s3
	s_delay_alu instid0(SALU_CYCLE_1) | instskip(NEXT) | instid1(SALU_CYCLE_1)
	s_lshl_b64 s[2:3], s[2:3], 1
	s_add_u32 s0, s0, s2
	s_addc_u32 s1, s1, s3
	global_store_b128 v1, v[4:7], s[0:1]
	s_nop 0
	s_sendmsg sendmsg(MSG_DEALLOC_VGPRS)
	s_endpgm
	.section	.rodata,"a",@progbits
	.p2align	6, 0x0
	.amdhsa_kernel _Z30fast_hadamard_transform_kernelI37fast_hadamard_transform_kernel_traitsILi32ELi8E14__hip_bfloat16EEv18HadamardParamsBase
		.amdhsa_group_segment_fixed_size 0
		.amdhsa_private_segment_fixed_size 0
		.amdhsa_kernarg_size 56
		.amdhsa_user_sgpr_count 15
		.amdhsa_user_sgpr_dispatch_ptr 0
		.amdhsa_user_sgpr_queue_ptr 0
		.amdhsa_user_sgpr_kernarg_segment_ptr 1
		.amdhsa_user_sgpr_dispatch_id 0
		.amdhsa_user_sgpr_private_segment_size 0
		.amdhsa_wavefront_size32 1
		.amdhsa_uses_dynamic_stack 0
		.amdhsa_enable_private_segment 0
		.amdhsa_system_sgpr_workgroup_id_x 1
		.amdhsa_system_sgpr_workgroup_id_y 0
		.amdhsa_system_sgpr_workgroup_id_z 0
		.amdhsa_system_sgpr_workgroup_info 0
		.amdhsa_system_vgpr_workitem_id 0
		.amdhsa_next_free_vgpr 22
		.amdhsa_next_free_sgpr 16
		.amdhsa_reserve_vcc 1
		.amdhsa_float_round_mode_32 0
		.amdhsa_float_round_mode_16_64 0
		.amdhsa_float_denorm_mode_32 3
		.amdhsa_float_denorm_mode_16_64 3
		.amdhsa_dx10_clamp 1
		.amdhsa_ieee_mode 1
		.amdhsa_fp16_overflow 0
		.amdhsa_workgroup_processor_mode 1
		.amdhsa_memory_ordered 1
		.amdhsa_forward_progress 0
		.amdhsa_shared_vgpr_count 0
		.amdhsa_exception_fp_ieee_invalid_op 0
		.amdhsa_exception_fp_denorm_src 0
		.amdhsa_exception_fp_ieee_div_zero 0
		.amdhsa_exception_fp_ieee_overflow 0
		.amdhsa_exception_fp_ieee_underflow 0
		.amdhsa_exception_fp_ieee_inexact 0
		.amdhsa_exception_int_div_zero 0
	.end_amdhsa_kernel
	.section	.text._Z30fast_hadamard_transform_kernelI37fast_hadamard_transform_kernel_traitsILi32ELi8E14__hip_bfloat16EEv18HadamardParamsBase,"axG",@progbits,_Z30fast_hadamard_transform_kernelI37fast_hadamard_transform_kernel_traitsILi32ELi8E14__hip_bfloat16EEv18HadamardParamsBase,comdat
.Lfunc_end31:
	.size	_Z30fast_hadamard_transform_kernelI37fast_hadamard_transform_kernel_traitsILi32ELi8E14__hip_bfloat16EEv18HadamardParamsBase, .Lfunc_end31-_Z30fast_hadamard_transform_kernelI37fast_hadamard_transform_kernel_traitsILi32ELi8E14__hip_bfloat16EEv18HadamardParamsBase
                                        ; -- End function
	.section	.AMDGPU.csdata,"",@progbits
; Kernel info:
; codeLenInByte = 2508
; NumSgprs: 18
; NumVgprs: 22
; ScratchSize: 0
; MemoryBound: 0
; FloatMode: 240
; IeeeMode: 1
; LDSByteSize: 0 bytes/workgroup (compile time only)
; SGPRBlocks: 2
; VGPRBlocks: 2
; NumSGPRsForWavesPerEU: 18
; NumVGPRsForWavesPerEU: 22
; Occupancy: 16
; WaveLimiterHint : 0
; COMPUTE_PGM_RSRC2:SCRATCH_EN: 0
; COMPUTE_PGM_RSRC2:USER_SGPR: 15
; COMPUTE_PGM_RSRC2:TRAP_HANDLER: 0
; COMPUTE_PGM_RSRC2:TGID_X_EN: 1
; COMPUTE_PGM_RSRC2:TGID_Y_EN: 0
; COMPUTE_PGM_RSRC2:TGID_Z_EN: 0
; COMPUTE_PGM_RSRC2:TIDIG_COMP_CNT: 0
	.section	.text._Z30fast_hadamard_transform_kernelI37fast_hadamard_transform_kernel_traitsILi32ELi9E14__hip_bfloat16EEv18HadamardParamsBase,"axG",@progbits,_Z30fast_hadamard_transform_kernelI37fast_hadamard_transform_kernel_traitsILi32ELi9E14__hip_bfloat16EEv18HadamardParamsBase,comdat
	.protected	_Z30fast_hadamard_transform_kernelI37fast_hadamard_transform_kernel_traitsILi32ELi9E14__hip_bfloat16EEv18HadamardParamsBase ; -- Begin function _Z30fast_hadamard_transform_kernelI37fast_hadamard_transform_kernel_traitsILi32ELi9E14__hip_bfloat16EEv18HadamardParamsBase
	.globl	_Z30fast_hadamard_transform_kernelI37fast_hadamard_transform_kernel_traitsILi32ELi9E14__hip_bfloat16EEv18HadamardParamsBase
	.p2align	8
	.type	_Z30fast_hadamard_transform_kernelI37fast_hadamard_transform_kernel_traitsILi32ELi9E14__hip_bfloat16EEv18HadamardParamsBase,@function
_Z30fast_hadamard_transform_kernelI37fast_hadamard_transform_kernel_traitsILi32ELi9E14__hip_bfloat16EEv18HadamardParamsBase: ; @_Z30fast_hadamard_transform_kernelI37fast_hadamard_transform_kernel_traitsILi32ELi9E14__hip_bfloat16EEv18HadamardParamsBase
; %bb.0:
	s_clause 0x3
	s_load_b128 s[4:7], s[0:1], 0x10
	s_load_b32 s13, s[0:1], 0x4
	s_load_b128 s[8:11], s[0:1], 0x28
	s_load_b32 s14, s[0:1], 0x44
	s_ashr_i32 s12, s15, 31
	v_dual_mov_b32 v11, 0 :: v_dual_lshlrev_b32 v2, 3, v0
	v_dual_mov_b32 v3, 0 :: v_dual_mov_b32 v4, 0
	v_dual_mov_b32 v5, 0 :: v_dual_mov_b32 v6, 0
	;; [unrolled: 1-line block ×4, first 2 shown]
	v_lshlrev_b32_e32 v1, 4, v0
	s_waitcnt lgkmcnt(0)
	s_mul_hi_u32 s2, s4, s15
	s_mul_i32 s3, s4, s12
	s_mul_i32 s5, s5, s15
	s_add_i32 s3, s2, s3
	s_mul_i32 s2, s4, s15
	s_add_i32 s3, s3, s5
	v_cmp_gt_u32_e32 vcc_lo, s13, v2
	s_lshl_b64 s[2:3], s[2:3], 1
	s_delay_alu instid0(SALU_CYCLE_1)
	s_add_u32 s2, s8, s2
	s_addc_u32 s3, s9, s3
	s_and_saveexec_b32 s4, vcc_lo
	s_cbranch_execz .LBB32_2
; %bb.1:
	global_load_b128 v[12:15], v1, s[2:3]
	s_waitcnt vmcnt(0)
	v_and_b32_e32 v11, 0xffff0000, v12
	v_lshlrev_b32_e32 v10, 16, v12
	v_and_b32_e32 v9, 0xffff0000, v13
	v_lshlrev_b32_e32 v8, 16, v13
	;; [unrolled: 2-line block ×4, first 2 shown]
.LBB32_2:
	s_or_b32 exec_lo, exec_lo, s4
	s_load_b32 s4, s[0:1], 0x20
	s_and_b32 s5, 0xffff, s14
	s_delay_alu instid0(SALU_CYCLE_1) | instskip(SKIP_3) | instid1(VALU_DEP_4)
	v_dual_mov_b32 v13, 0 :: v_dual_add_nc_u32 v2, s5, v0
	v_mov_b32_e32 v14, 0
	v_mov_b32_e32 v16, 0
	v_mov_b32_e32 v18, 0
	v_dual_mov_b32 v12, 0 :: v_dual_lshlrev_b32 v15, 3, v2
	v_dual_mov_b32 v17, 0 :: v_dual_lshlrev_b32 v2, 4, v2
	s_delay_alu instid0(VALU_DEP_2) | instskip(SKIP_1) | instid1(VALU_DEP_2)
	v_cmp_gt_u32_e64 s0, s13, v15
	v_mov_b32_e32 v15, 0
	s_and_saveexec_b32 s1, s0
	s_cbranch_execz .LBB32_4
; %bb.3:
	global_load_b128 v[19:22], v2, s[2:3]
	s_waitcnt vmcnt(0)
	v_and_b32_e32 v18, 0xffff0000, v19
	v_lshlrev_b32_e32 v17, 16, v19
	v_and_b32_e32 v16, 0xffff0000, v20
	v_lshlrev_b32_e32 v15, 16, v20
	;; [unrolled: 2-line block ×4, first 2 shown]
.LBB32_4:
	s_or_b32 exec_lo, exec_lo, s1
	v_mbcnt_lo_u32_b32 v20, -1, 0
	v_add_f32_e32 v19, v10, v11
	v_dual_sub_f32 v10, v10, v11 :: v_dual_add_f32 v11, v17, v18
	v_dual_sub_f32 v17, v17, v18 :: v_dual_add_f32 v18, v8, v9
	;; [unrolled: 1-line block ×7, first 2 shown]
	v_xor_b32_e32 v21, 1, v20
	v_sub_f32_e32 v3, v3, v12
	v_add_f32_e32 v12, v19, v18
	v_sub_f32_e32 v18, v19, v18
	v_add_f32_e32 v19, v11, v9
	;; [unrolled: 2-line block ×7, first 2 shown]
	v_cmp_gt_i32_e64 s1, 32, v21
	v_sub_f32_e32 v4, v6, v4
	v_add_f32_e32 v6, v13, v3
	v_sub_f32_e32 v3, v13, v3
	v_add_f32_e32 v13, v12, v17
	v_cndmask_b32_e64 v21, v20, v21, s1
	v_sub_f32_e32 v12, v12, v17
	v_dual_add_f32 v22, v10, v6 :: v_dual_add_f32 v17, v19, v16
	v_sub_f32_e32 v6, v10, v6
	v_sub_f32_e32 v16, v19, v16
	v_add_f32_e32 v19, v11, v7
	v_sub_f32_e32 v7, v11, v7
	v_add_f32_e32 v11, v18, v14
	v_sub_f32_e32 v14, v18, v14
	v_and_b32_e32 v18, 1, v0
	v_dual_add_f32 v26, v8, v4 :: v_dual_lshlrev_b32 v21, 2, v21
	v_sub_f32_e32 v4, v8, v4
	s_delay_alu instid0(VALU_DEP_3)
	v_cmp_eq_u32_e64 s1, 0, v18
	ds_bpermute_b32 v10, v21, v13
	ds_bpermute_b32 v23, v21, v19
	;; [unrolled: 1-line block ×4, first 2 shown]
	v_cndmask_b32_e64 v8, -v13, v13, s1
	ds_bpermute_b32 v13, v21, v12
	v_add_f32_e32 v25, v9, v5
	ds_bpermute_b32 v28, v21, v4
	v_cndmask_b32_e64 v19, -v19, v19, s1
	v_cndmask_b32_e64 v11, -v11, v11, s1
	;; [unrolled: 1-line block ×4, first 2 shown]
	v_sub_f32_e32 v5, v9, v5
	ds_bpermute_b32 v9, v21, v26
	ds_bpermute_b32 v18, v21, v7
	v_add_f32_e32 v29, v15, v3
	v_cndmask_b32_e64 v4, -v4, v4, s1
	v_sub_f32_e32 v3, v15, v3
	v_cndmask_b32_e64 v15, -v26, v26, s1
	ds_bpermute_b32 v26, v21, v6
	s_waitcnt lgkmcnt(0)
	v_add_f32_e32 v8, v8, v10
	v_add_f32_e32 v10, v19, v23
	ds_bpermute_b32 v19, v21, v17
	ds_bpermute_b32 v23, v21, v22
	v_cndmask_b32_e64 v7, -v7, v7, s1
	v_dual_add_f32 v12, v12, v13 :: v_dual_add_f32 v13, v14, v27
	v_cndmask_b32_e64 v14, -v17, v17, s1
	v_add_f32_e32 v11, v11, v24
	ds_bpermute_b32 v24, v21, v25
	v_xor_b32_e32 v17, 2, v20
	v_add_f32_e32 v4, v4, v28
	v_cndmask_b32_e64 v22, -v22, v22, s1
	v_cndmask_b32_e64 v25, -v25, v25, s1
	;; [unrolled: 1-line block ×3, first 2 shown]
	v_cmp_gt_i32_e64 s2, 32, v17
	v_add_f32_e32 v9, v15, v9
	ds_bpermute_b32 v15, v21, v29
	v_add_f32_e32 v6, v6, v26
	v_cndmask_b32_e64 v17, v20, v17, s2
	s_waitcnt lgkmcnt(3)
	s_delay_alu instid0(VALU_DEP_1)
	v_dual_add_f32 v14, v14, v19 :: v_dual_lshlrev_b32 v17, 2, v17
	ds_bpermute_b32 v30, v17, v4
	s_waitcnt lgkmcnt(2)
	v_dual_add_f32 v19, v22, v23 :: v_dual_add_f32 v22, v25, v24
	ds_bpermute_b32 v24, v21, v5
	ds_bpermute_b32 v25, v17, v8
	v_add_f32_e32 v7, v7, v18
	ds_bpermute_b32 v18, v21, v16
	ds_bpermute_b32 v21, v21, v3
	v_cndmask_b32_e64 v23, -v29, v29, s1
	v_cndmask_b32_e64 v3, -v3, v3, s1
	ds_bpermute_b32 v27, v17, v10
	v_cndmask_b32_e64 v16, -v16, v16, s1
	v_cndmask_b32_e64 v5, -v5, v5, s1
	ds_bpermute_b32 v28, v17, v11
	s_waitcnt lgkmcnt(2)
	v_dual_add_f32 v16, v16, v18 :: v_dual_add_f32 v3, v3, v21
	ds_bpermute_b32 v21, v17, v14
	v_add_f32_e32 v15, v23, v15
	v_and_b32_e32 v23, 2, v0
	ds_bpermute_b32 v18, v17, v9
	ds_bpermute_b32 v29, v17, v13
	v_cmp_eq_u32_e64 s1, 0, v23
	ds_bpermute_b32 v23, v17, v12
	v_cndmask_b32_e64 v8, -v8, v8, s1
	v_cndmask_b32_e64 v12, -v12, v12, s1
	;; [unrolled: 1-line block ×3, first 2 shown]
	v_add_f32_e32 v5, v5, v24
	v_cndmask_b32_e64 v9, -v9, v9, s1
	v_add_f32_e32 v8, v8, v25
	ds_bpermute_b32 v25, v17, v22
	v_cndmask_b32_e64 v4, -v4, v4, s1
	v_cndmask_b32_e64 v14, -v14, v14, s1
	ds_bpermute_b32 v26, v17, v7
	v_cndmask_b32_e64 v11, -v11, v11, s1
	s_waitcnt lgkmcnt(7)
	v_add_f32_e32 v10, v10, v27
	v_add_f32_e32 v4, v4, v30
	ds_bpermute_b32 v24, v17, v19
	ds_bpermute_b32 v27, v17, v6
	s_waitcnt lgkmcnt(7)
	v_add_f32_e32 v14, v14, v21
	s_waitcnt lgkmcnt(4)
	v_add_f32_e32 v12, v12, v23
	v_xor_b32_e32 v23, 4, v20
	v_cndmask_b32_e64 v6, -v6, v6, s1
	v_add_f32_e32 v9, v9, v18
	v_cndmask_b32_e64 v18, -v19, v19, s1
	ds_bpermute_b32 v19, v17, v15
	v_cmp_gt_i32_e64 s2, 32, v23
	v_cndmask_b32_e64 v22, -v22, v22, s1
	v_cndmask_b32_e64 v7, -v7, v7, s1
	;; [unrolled: 1-line block ×4, first 2 shown]
	v_cndmask_b32_e64 v23, v20, v23, s2
	v_add_f32_e32 v11, v11, v28
	ds_bpermute_b32 v28, v17, v5
	s_waitcnt lgkmcnt(5)
	v_add_f32_e32 v21, v22, v25
	v_cndmask_b32_e64 v5, -v5, v5, s1
	v_lshlrev_b32_e32 v22, 2, v23
	s_waitcnt lgkmcnt(3)
	v_add_f32_e32 v18, v18, v24
	s_waitcnt lgkmcnt(2)
	v_add_f32_e32 v6, v6, v27
	v_and_b32_e32 v30, 8, v0
	ds_bpermute_b32 v23, v22, v8
	v_add_f32_e32 v7, v7, v26
	ds_bpermute_b32 v26, v17, v16
	ds_bpermute_b32 v24, v22, v10
	s_waitcnt lgkmcnt(4)
	v_add_f32_e32 v15, v15, v19
	v_and_b32_e32 v19, 4, v0
	v_cndmask_b32_e64 v16, -v16, v16, s1
	ds_bpermute_b32 v17, v17, v3
	v_cndmask_b32_e64 v3, -v3, v3, s1
	v_add_f32_e32 v13, v13, v29
	v_cmp_eq_u32_e64 s1, 0, v19
	ds_bpermute_b32 v19, v22, v12
	s_waitcnt lgkmcnt(5)
	v_add_f32_e32 v5, v5, v28
	ds_bpermute_b32 v28, v22, v4
	ds_bpermute_b32 v25, v22, v11
	v_cndmask_b32_e64 v8, -v8, v8, s1
	v_cndmask_b32_e64 v12, -v12, v12, s1
	;; [unrolled: 1-line block ×5, first 2 shown]
	s_waitcnt lgkmcnt(6)
	v_add_f32_e32 v8, v8, v23
	ds_bpermute_b32 v23, v22, v18
	s_waitcnt lgkmcnt(6)
	v_add_f32_e32 v16, v16, v26
	ds_bpermute_b32 v26, v22, v7
	ds_bpermute_b32 v27, v22, v13
	v_cndmask_b32_e64 v7, -v7, v7, s1
	s_waitcnt lgkmcnt(6)
	v_dual_add_f32 v10, v10, v24 :: v_dual_add_f32 v3, v3, v17
	ds_bpermute_b32 v17, v22, v14
	v_cndmask_b32_e64 v13, -v13, v13, s1
	ds_bpermute_b32 v29, v22, v9
	s_waitcnt lgkmcnt(7)
	v_add_f32_e32 v12, v12, v19
	ds_bpermute_b32 v24, v22, v21
	s_waitcnt lgkmcnt(7)
	v_add_f32_e32 v19, v4, v28
	v_cndmask_b32_e64 v4, -v14, v14, s1
	v_cndmask_b32_e64 v14, -v18, v18, s1
	v_xor_b32_e32 v18, 8, v20
	v_cndmask_b32_e64 v21, -v21, v21, s1
	v_cndmask_b32_e64 v9, -v9, v9, s1
	v_and_b32_e32 v0, 16, v0
	s_delay_alu instid0(VALU_DEP_4)
	v_cmp_gt_i32_e64 s2, 32, v18
	s_waitcnt lgkmcnt(5)
	v_add_f32_e32 v14, v14, v23
	s_waitcnt lgkmcnt(3)
	v_add_f32_e32 v13, v13, v27
	ds_bpermute_b32 v27, v22, v6
	v_cndmask_b32_e64 v18, v20, v18, s2
	v_cndmask_b32_e64 v6, -v6, v6, s1
	s_waitcnt lgkmcnt(3)
	v_add_f32_e32 v17, v4, v17
	v_cndmask_b32_e64 v4, -v16, v16, s1
	v_lshlrev_b32_e32 v18, 2, v18
	ds_bpermute_b32 v28, v22, v5
	v_cndmask_b32_e64 v5, -v5, v5, s1
	v_add_f32_e32 v7, v7, v26
	ds_bpermute_b32 v26, v22, v16
	v_add_f32_e32 v11, v11, v25
	ds_bpermute_b32 v25, v22, v15
	ds_bpermute_b32 v22, v22, v3
	s_waitcnt lgkmcnt(5)
	v_add_f32_e32 v21, v21, v24
	ds_bpermute_b32 v16, v18, v8
	ds_bpermute_b32 v23, v18, v10
	v_cndmask_b32_e64 v15, -v15, v15, s1
	v_cndmask_b32_e64 v3, -v3, v3, s1
	v_cmp_eq_u32_e64 s1, 0, v30
	v_add_f32_e32 v9, v9, v29
	ds_bpermute_b32 v29, v18, v12
	s_waitcnt lgkmcnt(6)
	v_dual_add_f32 v27, v6, v27 :: v_dual_add_f32 v28, v5, v28
	ds_bpermute_b32 v30, v18, v7
	v_cndmask_b32_e64 v7, -v7, v7, s1
	s_waitcnt lgkmcnt(6)
	v_add_f32_e32 v26, v4, v26
	ds_bpermute_b32 v24, v18, v11
	v_cndmask_b32_e64 v4, -v10, v10, s1
	s_waitcnt lgkmcnt(5)
	v_add_f32_e32 v22, v3, v22
	v_cndmask_b32_e64 v3, -v8, v8, s1
	v_cndmask_b32_e64 v5, -v11, v11, s1
	v_add_f32_e32 v15, v15, v25
	ds_bpermute_b32 v25, v18, v9
	v_cndmask_b32_e64 v6, -v9, v9, s1
	v_cndmask_b32_e64 v9, -v12, v12, s1
	s_waitcnt lgkmcnt(5)
	v_add_f32_e32 v11, v3, v16
	s_waitcnt lgkmcnt(4)
	v_add_f32_e32 v3, v4, v23
	ds_bpermute_b32 v16, v18, v14
	v_cndmask_b32_e64 v14, -v14, v14, s1
	ds_bpermute_b32 v23, v18, v21
	s_waitcnt lgkmcnt(3)
	v_dual_add_f32 v7, v7, v30 :: v_dual_add_f32 v4, v5, v24
	ds_bpermute_b32 v12, v18, v17
	v_cndmask_b32_e64 v17, -v17, v17, s1
	s_waitcnt lgkmcnt(3)
	v_add_f32_e32 v5, v6, v25
	v_add_f32_e32 v6, v9, v29
	ds_bpermute_b32 v10, v18, v19
	ds_bpermute_b32 v25, v18, v22
	v_cndmask_b32_e64 v22, -v22, v22, s1
	s_waitcnt lgkmcnt(2)
	v_add_f32_e32 v30, v17, v12
	v_add_f32_e32 v12, v14, v16
	ds_bpermute_b32 v8, v18, v13
	v_cndmask_b32_e64 v9, -v13, v13, s1
	v_xor_b32_e32 v13, 16, v20
	v_cndmask_b32_e64 v17, -v28, v28, s1
	s_delay_alu instid0(VALU_DEP_2) | instskip(NEXT) | instid1(VALU_DEP_1)
	v_cmp_gt_i32_e64 s2, 32, v13
	v_cndmask_b32_e64 v13, v20, v13, s2
	ds_bpermute_b32 v20, v18, v28
	v_lshlrev_b32_e32 v33, 2, v13
	ds_bpermute_b32 v13, v18, v26
	s_waitcnt lgkmcnt(2)
	v_add_f32_e32 v8, v9, v8
	ds_bpermute_b32 v24, v18, v15
	v_cndmask_b32_e64 v9, -v19, v19, s1
	v_cndmask_b32_e64 v15, -v15, v15, s1
	ds_bpermute_b32 v31, v33, v30
	v_add_f32_e32 v10, v9, v10
	ds_bpermute_b32 v19, v18, v27
	v_cndmask_b32_e64 v18, -v21, v21, s1
	v_cndmask_b32_e64 v9, -v26, v26, s1
	s_waitcnt lgkmcnt(4)
	s_delay_alu instid0(VALU_DEP_2)
	v_dual_add_f32 v14, v18, v23 :: v_dual_add_f32 v23, v17, v20
	v_add_f32_e32 v20, v22, v25
	s_waitcnt lgkmcnt(3)
	v_add_f32_e32 v18, v9, v13
	ds_bpermute_b32 v29, v33, v11
	s_waitcnt lgkmcnt(3)
	v_add_f32_e32 v16, v15, v24
	v_cndmask_b32_e64 v15, -v27, v27, s1
	v_cmp_eq_u32_e64 s1, 0, v0
	s_delay_alu instid0(VALU_DEP_1) | instskip(SKIP_1) | instid1(VALU_DEP_3)
	v_cndmask_b32_e64 v0, -v11, v11, s1
	s_waitcnt lgkmcnt(1)
	v_add_f32_e32 v21, v15, v19
	s_waitcnt lgkmcnt(0)
	s_delay_alu instid0(VALU_DEP_2) | instskip(SKIP_1) | instid1(VALU_DEP_1)
	v_add_f32_e32 v9, v0, v29
	v_cndmask_b32_e64 v0, -v30, v30, s1
	v_add_f32_e32 v11, v0, v31
	s_delay_alu instid0(VALU_DEP_1)
	v_add_f32_e32 v0, v9, v11
	ds_bpermute_b32 v13, v33, v3
	ds_bpermute_b32 v15, v33, v4
	;; [unrolled: 1-line block ×14, first 2 shown]
	v_mul_f32_e32 v33, s4, v0
	s_delay_alu instid0(VALU_DEP_1) | instskip(NEXT) | instid1(VALU_DEP_1)
	v_and_b32_e32 v0, 0x7f800000, v33
	v_cmp_ne_u32_e64 s2, 0x7f800000, v0
                                        ; implicit-def: $vgpr0
	s_delay_alu instid0(VALU_DEP_1) | instskip(NEXT) | instid1(SALU_CYCLE_1)
	s_and_saveexec_b32 s3, s2
	s_xor_b32 s2, exec_lo, s3
; %bb.5:
	v_bfe_u32 v0, v33, 16, 1
	s_delay_alu instid0(VALU_DEP_1)
	v_add3_u32 v0, v33, v0, 0x7fff
                                        ; implicit-def: $vgpr33
; %bb.6:
	s_and_not1_saveexec_b32 s3, s2
; %bb.7:
	v_and_b32_e32 v0, 0xffff, v33
	v_or_b32_e32 v34, 0x10000, v33
	s_delay_alu instid0(VALU_DEP_2) | instskip(NEXT) | instid1(VALU_DEP_1)
	v_cmp_eq_u32_e64 s2, 0, v0
	v_cndmask_b32_e64 v0, v34, v33, s2
; %bb.8:
	s_or_b32 exec_lo, exec_lo, s3
	v_cndmask_b32_e64 v3, -v3, v3, s1
	v_cndmask_b32_e64 v33, -v12, v12, s1
	s_waitcnt lgkmcnt(6)
	s_delay_alu instid0(VALU_DEP_1) | instskip(NEXT) | instid1(VALU_DEP_1)
	v_dual_add_f32 v12, v3, v13 :: v_dual_add_f32 v13, v33, v32
	v_add_f32_e32 v3, v12, v13
	s_delay_alu instid0(VALU_DEP_1) | instskip(NEXT) | instid1(VALU_DEP_1)
	v_mul_f32_e32 v32, s4, v3
	v_and_b32_e32 v3, 0x7f800000, v32
	s_delay_alu instid0(VALU_DEP_1) | instskip(NEXT) | instid1(VALU_DEP_1)
	v_cmp_ne_u32_e64 s2, 0x7f800000, v3
                                        ; implicit-def: $vgpr3
	s_and_saveexec_b32 s3, s2
	s_delay_alu instid0(SALU_CYCLE_1)
	s_xor_b32 s2, exec_lo, s3
; %bb.9:
	v_bfe_u32 v3, v32, 16, 1
	s_delay_alu instid0(VALU_DEP_1)
	v_add3_u32 v3, v32, v3, 0x7fff
                                        ; implicit-def: $vgpr32
; %bb.10:
	s_and_not1_saveexec_b32 s3, s2
; %bb.11:
	v_and_b32_e32 v3, 0xffff, v32
	v_or_b32_e32 v33, 0x10000, v32
	s_delay_alu instid0(VALU_DEP_2) | instskip(NEXT) | instid1(VALU_DEP_1)
	v_cmp_eq_u32_e64 s2, 0, v3
	v_cndmask_b32_e64 v3, v33, v32, s2
; %bb.12:
	s_or_b32 exec_lo, exec_lo, s3
	v_cndmask_b32_e64 v4, -v4, v4, s1
	v_cndmask_b32_e64 v32, -v14, v14, s1
	s_delay_alu instid0(VALU_DEP_2) | instskip(SKIP_1) | instid1(VALU_DEP_2)
	v_add_f32_e32 v14, v4, v15
	s_waitcnt lgkmcnt(5)
	v_add_f32_e32 v15, v32, v31
	s_delay_alu instid0(VALU_DEP_1) | instskip(NEXT) | instid1(VALU_DEP_1)
	v_add_f32_e32 v4, v14, v15
	v_mul_f32_e32 v31, s4, v4
	s_delay_alu instid0(VALU_DEP_1) | instskip(NEXT) | instid1(VALU_DEP_1)
	v_and_b32_e32 v4, 0x7f800000, v31
	v_cmp_ne_u32_e64 s2, 0x7f800000, v4
                                        ; implicit-def: $vgpr4
	s_delay_alu instid0(VALU_DEP_1) | instskip(NEXT) | instid1(SALU_CYCLE_1)
	s_and_saveexec_b32 s3, s2
	s_xor_b32 s2, exec_lo, s3
; %bb.13:
	v_bfe_u32 v4, v31, 16, 1
	s_delay_alu instid0(VALU_DEP_1)
	v_add3_u32 v4, v31, v4, 0x7fff
                                        ; implicit-def: $vgpr31
; %bb.14:
	s_and_not1_saveexec_b32 s3, s2
; %bb.15:
	v_and_b32_e32 v4, 0xffff, v31
	v_or_b32_e32 v32, 0x10000, v31
	s_delay_alu instid0(VALU_DEP_2) | instskip(NEXT) | instid1(VALU_DEP_1)
	v_cmp_eq_u32_e64 s2, 0, v4
	v_cndmask_b32_e64 v4, v32, v31, s2
; %bb.16:
	s_or_b32 exec_lo, exec_lo, s3
	v_cndmask_b32_e64 v5, -v5, v5, s1
	v_cndmask_b32_e64 v31, -v16, v16, s1
	s_waitcnt lgkmcnt(4)
	s_delay_alu instid0(VALU_DEP_1) | instskip(NEXT) | instid1(VALU_DEP_1)
	v_dual_add_f32 v16, v5, v17 :: v_dual_add_f32 v17, v31, v30
	v_add_f32_e32 v5, v16, v17
	s_delay_alu instid0(VALU_DEP_1) | instskip(NEXT) | instid1(VALU_DEP_1)
	v_mul_f32_e32 v30, s4, v5
	v_and_b32_e32 v5, 0x7f800000, v30
	s_delay_alu instid0(VALU_DEP_1) | instskip(NEXT) | instid1(VALU_DEP_1)
	v_cmp_ne_u32_e64 s2, 0x7f800000, v5
                                        ; implicit-def: $vgpr5
	s_and_saveexec_b32 s3, s2
	s_delay_alu instid0(SALU_CYCLE_1)
	s_xor_b32 s2, exec_lo, s3
; %bb.17:
	v_bfe_u32 v5, v30, 16, 1
	s_delay_alu instid0(VALU_DEP_1)
	v_add3_u32 v5, v30, v5, 0x7fff
                                        ; implicit-def: $vgpr30
; %bb.18:
	s_and_not1_saveexec_b32 s3, s2
; %bb.19:
	v_and_b32_e32 v5, 0xffff, v30
	v_or_b32_e32 v31, 0x10000, v30
	s_delay_alu instid0(VALU_DEP_2) | instskip(NEXT) | instid1(VALU_DEP_1)
	v_cmp_eq_u32_e64 s2, 0, v5
	v_cndmask_b32_e64 v5, v31, v30, s2
; %bb.20:
	s_or_b32 exec_lo, exec_lo, s3
	v_cndmask_b32_e64 v6, -v6, v6, s1
	v_cndmask_b32_e64 v30, -v18, v18, s1
	s_delay_alu instid0(VALU_DEP_2) | instskip(SKIP_1) | instid1(VALU_DEP_2)
	v_add_f32_e32 v18, v6, v19
	s_waitcnt lgkmcnt(3)
	v_add_f32_e32 v19, v30, v29
	s_delay_alu instid0(VALU_DEP_1) | instskip(NEXT) | instid1(VALU_DEP_1)
	v_add_f32_e32 v6, v18, v19
	v_mul_f32_e32 v29, s4, v6
	s_delay_alu instid0(VALU_DEP_1) | instskip(NEXT) | instid1(VALU_DEP_1)
	v_and_b32_e32 v6, 0x7f800000, v29
	v_cmp_ne_u32_e64 s2, 0x7f800000, v6
                                        ; implicit-def: $vgpr6
	s_delay_alu instid0(VALU_DEP_1) | instskip(NEXT) | instid1(SALU_CYCLE_1)
	s_and_saveexec_b32 s3, s2
	s_xor_b32 s2, exec_lo, s3
; %bb.21:
	v_bfe_u32 v6, v29, 16, 1
	s_delay_alu instid0(VALU_DEP_1)
	v_add3_u32 v6, v29, v6, 0x7fff
                                        ; implicit-def: $vgpr29
; %bb.22:
	s_and_not1_saveexec_b32 s3, s2
; %bb.23:
	v_and_b32_e32 v6, 0xffff, v29
	v_or_b32_e32 v30, 0x10000, v29
	s_delay_alu instid0(VALU_DEP_2) | instskip(NEXT) | instid1(VALU_DEP_1)
	v_cmp_eq_u32_e64 s2, 0, v6
	v_cndmask_b32_e64 v6, v30, v29, s2
; %bb.24:
	s_or_b32 exec_lo, exec_lo, s3
	v_cndmask_b32_e64 v7, -v7, v7, s1
	v_cndmask_b32_e64 v29, -v21, v21, s1
	s_waitcnt lgkmcnt(2)
	s_delay_alu instid0(VALU_DEP_1) | instskip(NEXT) | instid1(VALU_DEP_1)
	v_dual_add_f32 v21, v7, v22 :: v_dual_add_f32 v22, v29, v28
	v_add_f32_e32 v7, v21, v22
	s_delay_alu instid0(VALU_DEP_1) | instskip(NEXT) | instid1(VALU_DEP_1)
	v_mul_f32_e32 v28, s4, v7
	v_and_b32_e32 v7, 0x7f800000, v28
	s_delay_alu instid0(VALU_DEP_1) | instskip(NEXT) | instid1(VALU_DEP_1)
	v_cmp_ne_u32_e64 s2, 0x7f800000, v7
                                        ; implicit-def: $vgpr7
	s_and_saveexec_b32 s3, s2
	s_delay_alu instid0(SALU_CYCLE_1)
	s_xor_b32 s2, exec_lo, s3
; %bb.25:
	v_bfe_u32 v7, v28, 16, 1
	s_delay_alu instid0(VALU_DEP_1)
	v_add3_u32 v7, v28, v7, 0x7fff
                                        ; implicit-def: $vgpr28
; %bb.26:
	s_and_not1_saveexec_b32 s3, s2
; %bb.27:
	v_and_b32_e32 v7, 0xffff, v28
	v_or_b32_e32 v29, 0x10000, v28
	s_delay_alu instid0(VALU_DEP_2) | instskip(NEXT) | instid1(VALU_DEP_1)
	v_cmp_eq_u32_e64 s2, 0, v7
	v_cndmask_b32_e64 v7, v29, v28, s2
; %bb.28:
	s_or_b32 exec_lo, exec_lo, s3
	v_cndmask_b32_e64 v8, -v8, v8, s1
	v_cndmask_b32_e64 v28, -v23, v23, s1
	s_delay_alu instid0(VALU_DEP_2) | instskip(SKIP_1) | instid1(VALU_DEP_2)
	v_add_f32_e32 v23, v8, v25
	s_waitcnt lgkmcnt(1)
	v_add_f32_e32 v25, v28, v27
	s_delay_alu instid0(VALU_DEP_1) | instskip(NEXT) | instid1(VALU_DEP_1)
	v_add_f32_e32 v8, v23, v25
	v_mul_f32_e32 v27, s4, v8
	s_delay_alu instid0(VALU_DEP_1) | instskip(NEXT) | instid1(VALU_DEP_1)
	v_and_b32_e32 v8, 0x7f800000, v27
	v_cmp_ne_u32_e64 s2, 0x7f800000, v8
                                        ; implicit-def: $vgpr8
	s_delay_alu instid0(VALU_DEP_1) | instskip(NEXT) | instid1(SALU_CYCLE_1)
	s_and_saveexec_b32 s3, s2
	s_xor_b32 s2, exec_lo, s3
; %bb.29:
	v_bfe_u32 v8, v27, 16, 1
	s_delay_alu instid0(VALU_DEP_1)
	v_add3_u32 v8, v27, v8, 0x7fff
                                        ; implicit-def: $vgpr27
; %bb.30:
	s_and_not1_saveexec_b32 s3, s2
; %bb.31:
	v_and_b32_e32 v8, 0xffff, v27
	v_or_b32_e32 v28, 0x10000, v27
	s_delay_alu instid0(VALU_DEP_2) | instskip(NEXT) | instid1(VALU_DEP_1)
	v_cmp_eq_u32_e64 s2, 0, v8
	v_cndmask_b32_e64 v8, v28, v27, s2
; %bb.32:
	s_or_b32 exec_lo, exec_lo, s3
	v_cndmask_b32_e64 v10, -v10, v10, s1
	v_cndmask_b32_e64 v27, -v20, v20, s1
	s_delay_alu instid0(VALU_DEP_2) | instskip(SKIP_1) | instid1(VALU_DEP_2)
	v_add_f32_e32 v20, v10, v24
	s_waitcnt lgkmcnt(0)
	v_add_f32_e32 v24, v27, v26
	s_delay_alu instid0(VALU_DEP_1) | instskip(NEXT) | instid1(VALU_DEP_1)
	v_add_f32_e32 v10, v20, v24
	v_mul_f32_e32 v26, s4, v10
	s_delay_alu instid0(VALU_DEP_1) | instskip(NEXT) | instid1(VALU_DEP_1)
	v_and_b32_e32 v10, 0x7f800000, v26
	v_cmp_ne_u32_e64 s1, 0x7f800000, v10
                                        ; implicit-def: $vgpr10
	s_delay_alu instid0(VALU_DEP_1) | instskip(NEXT) | instid1(SALU_CYCLE_1)
	s_and_saveexec_b32 s2, s1
	s_xor_b32 s1, exec_lo, s2
; %bb.33:
	v_bfe_u32 v10, v26, 16, 1
	s_delay_alu instid0(VALU_DEP_1)
	v_add3_u32 v10, v26, v10, 0x7fff
                                        ; implicit-def: $vgpr26
; %bb.34:
	s_and_not1_saveexec_b32 s2, s1
; %bb.35:
	v_and_b32_e32 v10, 0xffff, v26
	v_or_b32_e32 v27, 0x10000, v26
	s_delay_alu instid0(VALU_DEP_2) | instskip(NEXT) | instid1(VALU_DEP_1)
	v_cmp_eq_u32_e64 s1, 0, v10
	v_cndmask_b32_e64 v10, v27, v26, s1
; %bb.36:
	s_or_b32 exec_lo, exec_lo, s2
	v_sub_f32_e32 v9, v9, v11
	s_delay_alu instid0(VALU_DEP_1) | instskip(NEXT) | instid1(VALU_DEP_1)
	v_mul_f32_e32 v11, s4, v9
	v_and_b32_e32 v9, 0x7f800000, v11
	s_delay_alu instid0(VALU_DEP_1) | instskip(NEXT) | instid1(VALU_DEP_1)
	v_cmp_ne_u32_e64 s1, 0x7f800000, v9
                                        ; implicit-def: $vgpr9
	s_and_saveexec_b32 s2, s1
	s_delay_alu instid0(SALU_CYCLE_1)
	s_xor_b32 s1, exec_lo, s2
; %bb.37:
	v_bfe_u32 v9, v11, 16, 1
	s_delay_alu instid0(VALU_DEP_1)
	v_add3_u32 v9, v11, v9, 0x7fff
                                        ; implicit-def: $vgpr11
; %bb.38:
	s_and_not1_saveexec_b32 s2, s1
; %bb.39:
	v_and_b32_e32 v9, 0xffff, v11
	v_or_b32_e32 v26, 0x10000, v11
	s_delay_alu instid0(VALU_DEP_2) | instskip(NEXT) | instid1(VALU_DEP_1)
	v_cmp_eq_u32_e64 s1, 0, v9
	v_cndmask_b32_e64 v9, v26, v11, s1
; %bb.40:
	s_or_b32 exec_lo, exec_lo, s2
	v_sub_f32_e32 v11, v12, v13
	s_delay_alu instid0(VALU_DEP_1) | instskip(NEXT) | instid1(VALU_DEP_1)
	v_mul_f32_e32 v12, s4, v11
	v_and_b32_e32 v11, 0x7f800000, v12
	s_delay_alu instid0(VALU_DEP_1) | instskip(NEXT) | instid1(VALU_DEP_1)
	v_cmp_ne_u32_e64 s1, 0x7f800000, v11
                                        ; implicit-def: $vgpr11
	s_and_saveexec_b32 s2, s1
	s_delay_alu instid0(SALU_CYCLE_1)
	s_xor_b32 s1, exec_lo, s2
; %bb.41:
	v_bfe_u32 v11, v12, 16, 1
	s_delay_alu instid0(VALU_DEP_1)
	v_add3_u32 v11, v12, v11, 0x7fff
                                        ; implicit-def: $vgpr12
; %bb.42:
	s_and_not1_saveexec_b32 s2, s1
; %bb.43:
	v_and_b32_e32 v11, 0xffff, v12
	v_or_b32_e32 v13, 0x10000, v12
	s_delay_alu instid0(VALU_DEP_2) | instskip(NEXT) | instid1(VALU_DEP_1)
	v_cmp_eq_u32_e64 s1, 0, v11
	v_cndmask_b32_e64 v11, v13, v12, s1
; %bb.44:
	s_or_b32 exec_lo, exec_lo, s2
	v_sub_f32_e32 v12, v14, v15
	s_delay_alu instid0(VALU_DEP_1) | instskip(NEXT) | instid1(VALU_DEP_1)
	v_mul_f32_e32 v13, s4, v12
	v_and_b32_e32 v12, 0x7f800000, v13
	s_delay_alu instid0(VALU_DEP_1) | instskip(NEXT) | instid1(VALU_DEP_1)
	v_cmp_ne_u32_e64 s1, 0x7f800000, v12
                                        ; implicit-def: $vgpr12
	s_and_saveexec_b32 s2, s1
	s_delay_alu instid0(SALU_CYCLE_1)
	s_xor_b32 s1, exec_lo, s2
; %bb.45:
	v_bfe_u32 v12, v13, 16, 1
	s_delay_alu instid0(VALU_DEP_1)
	v_add3_u32 v12, v13, v12, 0x7fff
                                        ; implicit-def: $vgpr13
; %bb.46:
	s_and_not1_saveexec_b32 s2, s1
; %bb.47:
	v_and_b32_e32 v12, 0xffff, v13
	v_or_b32_e32 v14, 0x10000, v13
	s_delay_alu instid0(VALU_DEP_2) | instskip(NEXT) | instid1(VALU_DEP_1)
	v_cmp_eq_u32_e64 s1, 0, v12
	v_cndmask_b32_e64 v12, v14, v13, s1
; %bb.48:
	s_or_b32 exec_lo, exec_lo, s2
	v_sub_f32_e32 v13, v16, v17
	s_delay_alu instid0(VALU_DEP_1) | instskip(NEXT) | instid1(VALU_DEP_1)
	v_mul_f32_e32 v14, s4, v13
	v_and_b32_e32 v13, 0x7f800000, v14
	s_delay_alu instid0(VALU_DEP_1) | instskip(NEXT) | instid1(VALU_DEP_1)
	v_cmp_ne_u32_e64 s1, 0x7f800000, v13
                                        ; implicit-def: $vgpr13
	s_and_saveexec_b32 s2, s1
	s_delay_alu instid0(SALU_CYCLE_1)
	s_xor_b32 s1, exec_lo, s2
; %bb.49:
	v_bfe_u32 v13, v14, 16, 1
	s_delay_alu instid0(VALU_DEP_1)
	v_add3_u32 v13, v14, v13, 0x7fff
                                        ; implicit-def: $vgpr14
; %bb.50:
	s_and_not1_saveexec_b32 s2, s1
; %bb.51:
	v_and_b32_e32 v13, 0xffff, v14
	v_or_b32_e32 v15, 0x10000, v14
	s_delay_alu instid0(VALU_DEP_2) | instskip(NEXT) | instid1(VALU_DEP_1)
	v_cmp_eq_u32_e64 s1, 0, v13
	v_cndmask_b32_e64 v13, v15, v14, s1
; %bb.52:
	s_or_b32 exec_lo, exec_lo, s2
	v_sub_f32_e32 v14, v18, v19
	s_delay_alu instid0(VALU_DEP_1) | instskip(NEXT) | instid1(VALU_DEP_1)
	v_mul_f32_e32 v15, s4, v14
	v_and_b32_e32 v14, 0x7f800000, v15
	s_delay_alu instid0(VALU_DEP_1) | instskip(NEXT) | instid1(VALU_DEP_1)
	v_cmp_ne_u32_e64 s1, 0x7f800000, v14
                                        ; implicit-def: $vgpr14
	s_and_saveexec_b32 s2, s1
	s_delay_alu instid0(SALU_CYCLE_1)
	s_xor_b32 s1, exec_lo, s2
; %bb.53:
	v_bfe_u32 v14, v15, 16, 1
	s_delay_alu instid0(VALU_DEP_1)
	v_add3_u32 v14, v15, v14, 0x7fff
                                        ; implicit-def: $vgpr15
; %bb.54:
	s_and_not1_saveexec_b32 s2, s1
; %bb.55:
	v_and_b32_e32 v14, 0xffff, v15
	v_or_b32_e32 v16, 0x10000, v15
	s_delay_alu instid0(VALU_DEP_2) | instskip(NEXT) | instid1(VALU_DEP_1)
	v_cmp_eq_u32_e64 s1, 0, v14
	v_cndmask_b32_e64 v14, v16, v15, s1
; %bb.56:
	s_or_b32 exec_lo, exec_lo, s2
	v_sub_f32_e32 v15, v21, v22
	s_delay_alu instid0(VALU_DEP_1) | instskip(NEXT) | instid1(VALU_DEP_1)
	v_mul_f32_e32 v16, s4, v15
	v_and_b32_e32 v15, 0x7f800000, v16
	s_delay_alu instid0(VALU_DEP_1) | instskip(NEXT) | instid1(VALU_DEP_1)
	v_cmp_ne_u32_e64 s1, 0x7f800000, v15
                                        ; implicit-def: $vgpr15
	s_and_saveexec_b32 s2, s1
	s_delay_alu instid0(SALU_CYCLE_1)
	s_xor_b32 s1, exec_lo, s2
; %bb.57:
	v_bfe_u32 v15, v16, 16, 1
	s_delay_alu instid0(VALU_DEP_1)
	v_add3_u32 v15, v16, v15, 0x7fff
                                        ; implicit-def: $vgpr16
; %bb.58:
	s_and_not1_saveexec_b32 s2, s1
; %bb.59:
	v_and_b32_e32 v15, 0xffff, v16
	v_or_b32_e32 v17, 0x10000, v16
	s_delay_alu instid0(VALU_DEP_2) | instskip(NEXT) | instid1(VALU_DEP_1)
	v_cmp_eq_u32_e64 s1, 0, v15
	v_cndmask_b32_e64 v15, v17, v16, s1
; %bb.60:
	s_or_b32 exec_lo, exec_lo, s2
	v_sub_f32_e32 v16, v23, v25
	s_delay_alu instid0(VALU_DEP_1) | instskip(NEXT) | instid1(VALU_DEP_1)
	v_mul_f32_e32 v17, s4, v16
	v_and_b32_e32 v16, 0x7f800000, v17
	s_delay_alu instid0(VALU_DEP_1) | instskip(NEXT) | instid1(VALU_DEP_1)
	v_cmp_ne_u32_e64 s1, 0x7f800000, v16
                                        ; implicit-def: $vgpr16
	s_and_saveexec_b32 s2, s1
	s_delay_alu instid0(SALU_CYCLE_1)
	s_xor_b32 s1, exec_lo, s2
; %bb.61:
	v_bfe_u32 v16, v17, 16, 1
	s_delay_alu instid0(VALU_DEP_1)
	v_add3_u32 v16, v17, v16, 0x7fff
                                        ; implicit-def: $vgpr17
; %bb.62:
	s_and_not1_saveexec_b32 s2, s1
; %bb.63:
	v_and_b32_e32 v16, 0xffff, v17
	v_or_b32_e32 v18, 0x10000, v17
	s_delay_alu instid0(VALU_DEP_2) | instskip(NEXT) | instid1(VALU_DEP_1)
	v_cmp_eq_u32_e64 s1, 0, v16
	v_cndmask_b32_e64 v16, v18, v17, s1
; %bb.64:
	s_or_b32 exec_lo, exec_lo, s2
	v_sub_f32_e32 v17, v20, v24
	s_delay_alu instid0(VALU_DEP_1) | instskip(NEXT) | instid1(VALU_DEP_1)
	v_mul_f32_e32 v18, s4, v17
	v_and_b32_e32 v17, 0x7f800000, v18
	s_delay_alu instid0(VALU_DEP_1) | instskip(NEXT) | instid1(VALU_DEP_1)
	v_cmp_ne_u32_e64 s1, 0x7f800000, v17
                                        ; implicit-def: $vgpr17
	s_and_saveexec_b32 s2, s1
	s_delay_alu instid0(SALU_CYCLE_1)
	s_xor_b32 s1, exec_lo, s2
; %bb.65:
	v_bfe_u32 v17, v18, 16, 1
	s_delay_alu instid0(VALU_DEP_1)
	v_add3_u32 v17, v18, v17, 0x7fff
                                        ; implicit-def: $vgpr18
; %bb.66:
	s_and_not1_saveexec_b32 s2, s1
; %bb.67:
	v_and_b32_e32 v17, 0xffff, v18
	v_or_b32_e32 v19, 0x10000, v18
	s_delay_alu instid0(VALU_DEP_2) | instskip(NEXT) | instid1(VALU_DEP_1)
	v_cmp_eq_u32_e64 s1, 0, v17
	v_cndmask_b32_e64 v17, v19, v18, s1
; %bb.68:
	s_or_b32 exec_lo, exec_lo, s2
	s_mul_i32 s1, s6, s12
	s_mul_hi_u32 s2, s6, s15
	s_mul_i32 s3, s7, s15
	s_add_i32 s1, s2, s1
	s_mul_i32 s2, s6, s15
	s_add_i32 s3, s1, s3
	s_delay_alu instid0(SALU_CYCLE_1) | instskip(NEXT) | instid1(SALU_CYCLE_1)
	s_lshl_b64 s[2:3], s[2:3], 1
	s_add_u32 s2, s10, s2
	s_addc_u32 s3, s11, s3
	s_and_saveexec_b32 s1, vcc_lo
	s_cbranch_execnz .LBB32_71
; %bb.69:
	s_or_b32 exec_lo, exec_lo, s1
	s_and_saveexec_b32 s1, s0
	s_cbranch_execnz .LBB32_72
.LBB32_70:
	s_nop 0
	s_sendmsg sendmsg(MSG_DEALLOC_VGPRS)
	s_endpgm
.LBB32_71:
	v_perm_b32 v8, v10, v8, 0x7060302
	v_perm_b32 v7, v7, v6, 0x7060302
	;; [unrolled: 1-line block ×4, first 2 shown]
	global_store_b128 v1, v[5:8], s[2:3]
	s_or_b32 exec_lo, exec_lo, s1
	s_and_saveexec_b32 s1, s0
	s_cbranch_execz .LBB32_70
.LBB32_72:
	v_perm_b32 v6, v17, v16, 0x7060302
	v_perm_b32 v5, v15, v14, 0x7060302
	;; [unrolled: 1-line block ×4, first 2 shown]
	global_store_b128 v2, v[3:6], s[2:3]
	s_nop 0
	s_sendmsg sendmsg(MSG_DEALLOC_VGPRS)
	s_endpgm
	.section	.rodata,"a",@progbits
	.p2align	6, 0x0
	.amdhsa_kernel _Z30fast_hadamard_transform_kernelI37fast_hadamard_transform_kernel_traitsILi32ELi9E14__hip_bfloat16EEv18HadamardParamsBase
		.amdhsa_group_segment_fixed_size 0
		.amdhsa_private_segment_fixed_size 0
		.amdhsa_kernarg_size 312
		.amdhsa_user_sgpr_count 15
		.amdhsa_user_sgpr_dispatch_ptr 0
		.amdhsa_user_sgpr_queue_ptr 0
		.amdhsa_user_sgpr_kernarg_segment_ptr 1
		.amdhsa_user_sgpr_dispatch_id 0
		.amdhsa_user_sgpr_private_segment_size 0
		.amdhsa_wavefront_size32 1
		.amdhsa_uses_dynamic_stack 0
		.amdhsa_enable_private_segment 0
		.amdhsa_system_sgpr_workgroup_id_x 1
		.amdhsa_system_sgpr_workgroup_id_y 0
		.amdhsa_system_sgpr_workgroup_id_z 0
		.amdhsa_system_sgpr_workgroup_info 0
		.amdhsa_system_vgpr_workitem_id 0
		.amdhsa_next_free_vgpr 35
		.amdhsa_next_free_sgpr 16
		.amdhsa_reserve_vcc 1
		.amdhsa_float_round_mode_32 0
		.amdhsa_float_round_mode_16_64 0
		.amdhsa_float_denorm_mode_32 3
		.amdhsa_float_denorm_mode_16_64 3
		.amdhsa_dx10_clamp 1
		.amdhsa_ieee_mode 1
		.amdhsa_fp16_overflow 0
		.amdhsa_workgroup_processor_mode 1
		.amdhsa_memory_ordered 1
		.amdhsa_forward_progress 0
		.amdhsa_shared_vgpr_count 0
		.amdhsa_exception_fp_ieee_invalid_op 0
		.amdhsa_exception_fp_denorm_src 0
		.amdhsa_exception_fp_ieee_div_zero 0
		.amdhsa_exception_fp_ieee_overflow 0
		.amdhsa_exception_fp_ieee_underflow 0
		.amdhsa_exception_fp_ieee_inexact 0
		.amdhsa_exception_int_div_zero 0
	.end_amdhsa_kernel
	.section	.text._Z30fast_hadamard_transform_kernelI37fast_hadamard_transform_kernel_traitsILi32ELi9E14__hip_bfloat16EEv18HadamardParamsBase,"axG",@progbits,_Z30fast_hadamard_transform_kernelI37fast_hadamard_transform_kernel_traitsILi32ELi9E14__hip_bfloat16EEv18HadamardParamsBase,comdat
.Lfunc_end32:
	.size	_Z30fast_hadamard_transform_kernelI37fast_hadamard_transform_kernel_traitsILi32ELi9E14__hip_bfloat16EEv18HadamardParamsBase, .Lfunc_end32-_Z30fast_hadamard_transform_kernelI37fast_hadamard_transform_kernel_traitsILi32ELi9E14__hip_bfloat16EEv18HadamardParamsBase
                                        ; -- End function
	.section	.AMDGPU.csdata,"",@progbits
; Kernel info:
; codeLenInByte = 4616
; NumSgprs: 18
; NumVgprs: 35
; ScratchSize: 0
; MemoryBound: 0
; FloatMode: 240
; IeeeMode: 1
; LDSByteSize: 0 bytes/workgroup (compile time only)
; SGPRBlocks: 2
; VGPRBlocks: 4
; NumSGPRsForWavesPerEU: 18
; NumVGPRsForWavesPerEU: 35
; Occupancy: 16
; WaveLimiterHint : 0
; COMPUTE_PGM_RSRC2:SCRATCH_EN: 0
; COMPUTE_PGM_RSRC2:USER_SGPR: 15
; COMPUTE_PGM_RSRC2:TRAP_HANDLER: 0
; COMPUTE_PGM_RSRC2:TGID_X_EN: 1
; COMPUTE_PGM_RSRC2:TGID_Y_EN: 0
; COMPUTE_PGM_RSRC2:TGID_Z_EN: 0
; COMPUTE_PGM_RSRC2:TIDIG_COMP_CNT: 0
	.section	.text._Z30fast_hadamard_transform_kernelI37fast_hadamard_transform_kernel_traitsILi128ELi10E14__hip_bfloat16EEv18HadamardParamsBase,"axG",@progbits,_Z30fast_hadamard_transform_kernelI37fast_hadamard_transform_kernel_traitsILi128ELi10E14__hip_bfloat16EEv18HadamardParamsBase,comdat
	.protected	_Z30fast_hadamard_transform_kernelI37fast_hadamard_transform_kernel_traitsILi128ELi10E14__hip_bfloat16EEv18HadamardParamsBase ; -- Begin function _Z30fast_hadamard_transform_kernelI37fast_hadamard_transform_kernel_traitsILi128ELi10E14__hip_bfloat16EEv18HadamardParamsBase
	.globl	_Z30fast_hadamard_transform_kernelI37fast_hadamard_transform_kernel_traitsILi128ELi10E14__hip_bfloat16EEv18HadamardParamsBase
	.p2align	8
	.type	_Z30fast_hadamard_transform_kernelI37fast_hadamard_transform_kernel_traitsILi128ELi10E14__hip_bfloat16EEv18HadamardParamsBase,@function
_Z30fast_hadamard_transform_kernelI37fast_hadamard_transform_kernel_traitsILi128ELi10E14__hip_bfloat16EEv18HadamardParamsBase: ; @_Z30fast_hadamard_transform_kernelI37fast_hadamard_transform_kernel_traitsILi128ELi10E14__hip_bfloat16EEv18HadamardParamsBase
; %bb.0:
	s_clause 0x1
	s_load_b32 s2, s[0:1], 0x4
	s_load_b32 s7, s[0:1], 0x20
	v_dual_mov_b32 v6, 0 :: v_dual_lshlrev_b32 v9, 3, v0
	v_dual_mov_b32 v1, 0 :: v_dual_mov_b32 v2, 0
	v_dual_mov_b32 v3, 0 :: v_dual_mov_b32 v4, 0
	v_dual_mov_b32 v5, 0 :: v_dual_lshlrev_b32 v8, 4, v0
	v_mov_b32_e32 v7, 0
	s_ashr_i32 s6, s15, 31
	s_waitcnt lgkmcnt(0)
	v_cmp_gt_u32_e32 vcc_lo, s2, v9
	v_mov_b32_e32 v9, 0
	s_and_saveexec_b32 s2, vcc_lo
	s_cbranch_execz .LBB33_2
; %bb.1:
	s_clause 0x1
	s_load_b64 s[4:5], s[0:1], 0x10
	s_load_b64 s[8:9], s[0:1], 0x28
	s_waitcnt lgkmcnt(0)
	s_mul_i32 s3, s4, s6
	s_mul_hi_u32 s10, s4, s15
	s_mul_i32 s5, s5, s15
	s_add_i32 s3, s10, s3
	s_mul_i32 s4, s4, s15
	s_add_i32 s5, s3, s5
	s_delay_alu instid0(SALU_CYCLE_1) | instskip(NEXT) | instid1(SALU_CYCLE_1)
	s_lshl_b64 s[4:5], s[4:5], 1
	s_add_u32 s4, s8, s4
	s_addc_u32 s5, s9, s5
	global_load_b128 v[10:13], v8, s[4:5]
	s_waitcnt vmcnt(0)
	v_and_b32_e32 v9, 0xffff0000, v10
	v_lshlrev_b32_e32 v7, 16, v10
	v_and_b32_e32 v6, 0xffff0000, v11
	v_lshlrev_b32_e32 v5, 16, v11
	;; [unrolled: 2-line block ×4, first 2 shown]
.LBB33_2:
	s_or_b32 exec_lo, exec_lo, s2
	v_mbcnt_lo_u32_b32 v11, -1, 0
	v_dual_add_f32 v10, v9, v7 :: v_dual_sub_f32 v7, v7, v9
	v_add_f32_e32 v9, v6, v5
	v_sub_f32_e32 v5, v5, v6
	s_delay_alu instid0(VALU_DEP_4) | instskip(SKIP_1) | instid1(VALU_DEP_3)
	v_xor_b32_e32 v12, 1, v11
	v_dual_add_f32 v6, v4, v3 :: v_dual_sub_f32 v3, v3, v4
	v_dual_add_f32 v4, v2, v1 :: v_dual_add_f32 v13, v5, v7
	s_delay_alu instid0(VALU_DEP_3) | instskip(SKIP_2) | instid1(VALU_DEP_4)
	v_cmp_gt_i32_e64 s2, 32, v12
	v_sub_f32_e32 v5, v7, v5
	v_xor_b32_e32 v20, 2, v11
	v_add_f32_e32 v14, v4, v6
	v_sub_f32_e32 v4, v6, v4
	v_cndmask_b32_e64 v12, v11, v12, s2
	v_sub_f32_e32 v1, v1, v2
	v_dual_add_f32 v2, v9, v10 :: v_dual_sub_f32 v9, v10, v9
	v_cmp_gt_i32_e64 s3, 32, v20
	s_delay_alu instid0(VALU_DEP_3) | instskip(NEXT) | instid1(VALU_DEP_3)
	v_dual_add_f32 v15, v1, v3 :: v_dual_lshlrev_b32 v16, 2, v12
	v_dual_add_f32 v10, v14, v2 :: v_dual_sub_f32 v1, v3, v1
	v_sub_f32_e32 v2, v2, v14
	v_and_b32_e32 v14, 1, v0
	s_delay_alu instid0(VALU_DEP_4)
	v_dual_add_f32 v12, v15, v13 :: v_dual_sub_f32 v13, v13, v15
	ds_bpermute_b32 v3, v16, v10
	v_dual_add_f32 v7, v4, v9 :: v_dual_sub_f32 v4, v9, v4
	ds_bpermute_b32 v6, v16, v12
	v_cmp_eq_u32_e64 s2, 0, v14
	ds_bpermute_b32 v14, v16, v13
	ds_bpermute_b32 v15, v16, v7
	;; [unrolled: 1-line block ×3, first 2 shown]
	v_xor_b32_e32 v22, 4, v11
	v_cndmask_b32_e64 v9, -v10, v10, s2
	v_cndmask_b32_e64 v10, -v12, v12, s2
	v_add_f32_e32 v17, v1, v5
	v_cndmask_b32_e64 v2, -v2, v2, s2
	v_sub_f32_e32 v1, v5, v1
	v_cndmask_b32_e64 v5, v11, v20, s3
	v_cndmask_b32_e64 v7, -v7, v7, s2
	v_cndmask_b32_e64 v12, -v13, v13, s2
	v_cmp_gt_i32_e64 s4, 32, v22
	s_waitcnt lgkmcnt(0)
	s_barrier
	v_add_f32_e32 v3, v9, v3
	buffer_gl0_inv
	v_add_f32_e32 v6, v10, v6
	ds_bpermute_b32 v18, v16, v17
	v_add_f32_e32 v12, v12, v14
	v_cndmask_b32_e64 v9, -v17, v17, s2
	v_lshlrev_b32_e32 v17, 2, v5
	v_dual_add_f32 v7, v7, v15 :: v_dual_and_b32 v14, 2, v0
	ds_bpermute_b32 v5, v16, v4
	v_add_f32_e32 v2, v2, v19
	ds_bpermute_b32 v15, v17, v6
	ds_bpermute_b32 v10, v16, v1
	v_cmp_eq_u32_e64 s3, 0, v14
	v_cndmask_b32_e64 v4, -v4, v4, s2
	v_cndmask_b32_e64 v1, -v1, v1, s2
	s_delay_alu instid0(VALU_DEP_3) | instskip(SKIP_1) | instid1(VALU_DEP_3)
	v_cndmask_b32_e64 v6, -v6, v6, s3
	s_waitcnt lgkmcnt(2)
	v_dual_add_f32 v9, v9, v18 :: v_dual_add_f32 v4, v4, v5
	v_cndmask_b32_e64 v5, v11, v22, s4
	s_waitcnt lgkmcnt(1)
	v_add_f32_e32 v6, v6, v15
	ds_bpermute_b32 v18, v17, v7
	ds_bpermute_b32 v13, v17, v3
	;; [unrolled: 1-line block ×3, first 2 shown]
	v_cndmask_b32_e64 v7, -v7, v7, s3
	v_lshlrev_b32_e32 v5, 2, v5
	ds_bpermute_b32 v21, v17, v12
	v_cndmask_b32_e64 v2, -v2, v2, s3
	s_waitcnt lgkmcnt(4)
	v_add_f32_e32 v1, v1, v10
	ds_bpermute_b32 v10, v17, v4
	v_cndmask_b32_e64 v12, -v12, v12, s3
	v_and_b32_e32 v15, 4, v0
	v_cndmask_b32_e64 v3, -v3, v3, s3
	ds_bpermute_b32 v19, v17, v9
	v_cndmask_b32_e64 v4, -v4, v4, s3
	v_xor_b32_e32 v22, 8, v11
	v_cmp_eq_u32_e64 s4, 0, v15
	v_cndmask_b32_e64 v9, -v9, v9, s3
	s_delay_alu instid0(VALU_DEP_3)
	v_cmp_gt_i32_e64 s5, 32, v22
	s_waitcnt lgkmcnt(5)
	v_add_f32_e32 v7, v7, v18
	ds_bpermute_b32 v18, v5, v6
	s_waitcnt lgkmcnt(4)
	v_dual_add_f32 v3, v3, v13 :: v_dual_add_f32 v2, v2, v20
	ds_bpermute_b32 v13, v17, v1
	v_cndmask_b32_e64 v6, -v6, v6, s4
	v_cndmask_b32_e64 v1, -v1, v1, s3
	s_waitcnt lgkmcnt(4)
	v_add_f32_e32 v12, v12, v21
	s_waitcnt lgkmcnt(3)
	v_add_f32_e32 v4, v4, v10
	v_cndmask_b32_e64 v10, v11, v22, s5
	s_waitcnt lgkmcnt(2)
	s_delay_alu instid0(VALU_DEP_1)
	v_dual_add_f32 v9, v9, v19 :: v_dual_lshlrev_b32 v10, 2, v10
	s_waitcnt lgkmcnt(1)
	v_add_f32_e32 v6, v6, v18
	ds_bpermute_b32 v14, v5, v3
	v_cndmask_b32_e64 v3, -v3, v3, s4
	s_waitcnt lgkmcnt(1)
	v_dual_add_f32 v1, v1, v13 :: v_dual_and_b32 v18, 8, v0
	ds_bpermute_b32 v19, v5, v7
	ds_bpermute_b32 v20, v5, v9
	;; [unrolled: 1-line block ×4, first 2 shown]
	v_cndmask_b32_e64 v12, -v12, v12, s4
	v_cndmask_b32_e64 v7, -v7, v7, s4
	;; [unrolled: 1-line block ×4, first 2 shown]
	s_waitcnt lgkmcnt(4)
	v_add_f32_e32 v3, v3, v14
	ds_bpermute_b32 v14, v5, v4
	ds_bpermute_b32 v5, v5, v1
	v_cndmask_b32_e64 v4, -v4, v4, s4
	v_cndmask_b32_e64 v1, -v1, v1, s4
	v_cmp_eq_u32_e64 s4, 0, v18
	s_waitcnt lgkmcnt(3)
	v_dual_add_f32 v7, v7, v19 :: v_dual_add_f32 v2, v2, v21
	ds_bpermute_b32 v19, v10, v6
	s_waitcnt lgkmcnt(3)
	v_add_f32_e32 v12, v12, v13
	ds_bpermute_b32 v15, v10, v3
	v_cndmask_b32_e64 v3, -v3, v3, s4
	ds_bpermute_b32 v21, v10, v2
	v_cndmask_b32_e64 v2, -v2, v2, s4
	ds_bpermute_b32 v13, v10, v12
	s_waitcnt lgkmcnt(4)
	v_dual_add_f32 v4, v4, v14 :: v_dual_add_f32 v1, v1, v5
	v_cndmask_b32_e64 v5, -v6, v6, s4
	v_xor_b32_e32 v6, 16, v11
	ds_bpermute_b32 v14, v10, v4
	v_cndmask_b32_e64 v4, -v4, v4, s4
	v_cmp_gt_i32_e64 s5, 32, v6
	s_waitcnt lgkmcnt(2)
	v_dual_add_f32 v3, v3, v15 :: v_dual_add_f32 v2, v2, v21
	v_and_b32_e32 v21, 16, v0
	s_delay_alu instid0(VALU_DEP_3)
	v_cndmask_b32_e64 v6, v11, v6, s5
	v_add_f32_e32 v9, v9, v20
	ds_bpermute_b32 v20, v10, v7
	v_cndmask_b32_e64 v11, -v12, v12, s4
	v_cndmask_b32_e64 v7, -v7, v7, s4
	v_lshlrev_b32_e32 v6, 2, v6
	ds_bpermute_b32 v18, v10, v9
	ds_bpermute_b32 v10, v10, v1
	v_cndmask_b32_e64 v9, -v9, v9, s4
	v_cndmask_b32_e64 v1, -v1, v1, s4
	s_waitcnt lgkmcnt(4)
	v_add_f32_e32 v11, v11, v13
	v_cmp_eq_u32_e64 s4, 0, v21
	s_waitcnt lgkmcnt(3)
	v_add_f32_e32 v13, v4, v14
	ds_bpermute_b32 v12, v6, v3
	ds_bpermute_b32 v14, v6, v11
	v_cndmask_b32_e64 v11, -v11, v11, s4
	v_add_f32_e32 v5, v5, v19
	ds_bpermute_b32 v21, v6, v13
	v_cndmask_b32_e64 v13, -v13, v13, s4
	s_waitcnt lgkmcnt(5)
	v_add_f32_e32 v7, v7, v20
	ds_bpermute_b32 v15, v6, v5
	ds_bpermute_b32 v20, v6, v2
	s_waitcnt lgkmcnt(6)
	v_add_f32_e32 v9, v9, v18
	s_waitcnt lgkmcnt(5)
	v_add_f32_e32 v10, v1, v10
	ds_bpermute_b32 v18, v6, v7
	v_cndmask_b32_e64 v1, -v3, v3, s4
	v_cndmask_b32_e64 v3, -v5, v5, s4
	ds_bpermute_b32 v19, v6, v9
	v_cndmask_b32_e64 v4, -v7, v7, s4
	v_cndmask_b32_e64 v5, -v9, v9, s4
	v_cndmask_b32_e64 v7, -v2, v2, s4
	ds_bpermute_b32 v6, v6, v10
	s_waitcnt lgkmcnt(4)
	v_add_f32_e32 v2, v3, v15
	s_waitcnt lgkmcnt(3)
	v_add_f32_e32 v9, v7, v20
	v_lshrrev_b32_e32 v7, 2, v0
	v_cndmask_b32_e64 v15, -v10, v10, s4
	v_add_f32_e32 v1, v1, v12
	s_waitcnt lgkmcnt(2)
	v_add_f32_e32 v3, v4, v18
	v_lshrrev_b32_e32 v12, 5, v0
	v_add_f32_e32 v10, v11, v14
	s_waitcnt lgkmcnt(1)
	v_dual_add_f32 v4, v5, v19 :: v_dual_and_b32 v5, 3, v0
	v_add_f32_e32 v11, v13, v21
	v_xor_b32_e32 v0, v12, v0
	s_waitcnt lgkmcnt(0)
	v_add_f32_e32 v12, v15, v6
	v_lshl_or_b32 v7, v5, 5, v7
	s_delay_alu instid0(VALU_DEP_3)
	v_lshl_add_u32 v13, v0, 4, 0
	ds_store_b128 v13, v[1:4]
	ds_store_b128 v13, v[9:12] offset:2048
	v_xor_b32_e32 v5, v7, v5
	s_waitcnt lgkmcnt(0)
	s_barrier
	buffer_gl0_inv
	v_lshl_add_u32 v14, v5, 4, 0
	ds_load_b128 v[0:3], v14
	ds_load_b128 v[4:7], v14 offset:2048
	s_waitcnt lgkmcnt(0)
	s_barrier
	buffer_gl0_inv
	ds_bpermute_b32 v9, v16, v0
	v_cndmask_b32_e64 v0, -v0, v0, s2
	ds_bpermute_b32 v10, v16, v1
	ds_bpermute_b32 v11, v16, v2
	;; [unrolled: 1-line block ×7, first 2 shown]
	v_cndmask_b32_e64 v1, -v1, v1, s2
	v_cndmask_b32_e64 v2, -v2, v2, s2
	;; [unrolled: 1-line block ×7, first 2 shown]
	s_waitcnt lgkmcnt(7)
	v_add_f32_e32 v0, v0, v9
	s_waitcnt lgkmcnt(4)
	v_dual_add_f32 v2, v2, v11 :: v_dual_add_f32 v3, v3, v12
	ds_bpermute_b32 v9, v17, v0
	v_cndmask_b32_e64 v0, -v0, v0, s3
	s_waitcnt lgkmcnt(4)
	v_dual_add_f32 v1, v1, v10 :: v_dual_add_f32 v4, v4, v15
	s_waitcnt lgkmcnt(2)
	v_dual_add_f32 v5, v5, v18 :: v_dual_add_f32 v6, v6, v19
	s_waitcnt lgkmcnt(1)
	v_add_f32_e32 v7, v7, v16
	ds_bpermute_b32 v11, v17, v2
	ds_bpermute_b32 v12, v17, v3
	;; [unrolled: 1-line block ×5, first 2 shown]
	v_cndmask_b32_e64 v2, -v2, v2, s3
	v_cndmask_b32_e64 v3, -v3, v3, s3
	;; [unrolled: 1-line block ×5, first 2 shown]
	s_waitcnt lgkmcnt(5)
	v_add_f32_e32 v0, v0, v9
	ds_bpermute_b32 v10, v17, v1
	ds_bpermute_b32 v17, v17, v7
	v_cndmask_b32_e64 v1, -v1, v1, s3
	v_cndmask_b32_e64 v7, -v7, v7, s3
	s_waitcnt lgkmcnt(5)
	v_dual_add_f32 v2, v2, v11 :: v_dual_add_f32 v3, v3, v12
	s_waitcnt lgkmcnt(3)
	v_dual_add_f32 v4, v4, v15 :: v_dual_add_f32 v5, v5, v16
	s_waitcnt lgkmcnt(2)
	v_add_f32_e32 v6, v6, v18
	s_waitcnt lgkmcnt(1)
	v_add_f32_e32 v1, v1, v10
	;; [unrolled: 2-line block ×3, first 2 shown]
	ds_store_b128 v14, v[0:3]
	ds_store_b128 v14, v[4:7] offset:2048
	s_waitcnt lgkmcnt(0)
	s_barrier
	buffer_gl0_inv
	ds_load_b128 v[4:7], v13
	ds_load_b128 v[0:3], v13 offset:2048
	s_waitcnt lgkmcnt(1)
	v_mul_f32_e32 v9, s7, v4
	s_delay_alu instid0(VALU_DEP_1) | instskip(NEXT) | instid1(VALU_DEP_1)
	v_and_b32_e32 v4, 0x7f800000, v9
	v_cmp_ne_u32_e64 s2, 0x7f800000, v4
                                        ; implicit-def: $vgpr4
	s_delay_alu instid0(VALU_DEP_1) | instskip(NEXT) | instid1(SALU_CYCLE_1)
	s_and_saveexec_b32 s3, s2
	s_xor_b32 s2, exec_lo, s3
; %bb.3:
	v_bfe_u32 v4, v9, 16, 1
	s_delay_alu instid0(VALU_DEP_1)
	v_add3_u32 v4, v9, v4, 0x7fff
                                        ; implicit-def: $vgpr9
; %bb.4:
	s_and_not1_saveexec_b32 s3, s2
; %bb.5:
	v_and_b32_e32 v4, 0xffff, v9
	v_or_b32_e32 v10, 0x10000, v9
	s_delay_alu instid0(VALU_DEP_2) | instskip(NEXT) | instid1(VALU_DEP_1)
	v_cmp_eq_u32_e64 s2, 0, v4
	v_cndmask_b32_e64 v4, v10, v9, s2
; %bb.6:
	s_or_b32 exec_lo, exec_lo, s3
	v_mul_f32_e32 v9, s7, v5
	s_delay_alu instid0(VALU_DEP_1) | instskip(NEXT) | instid1(VALU_DEP_1)
	v_and_b32_e32 v5, 0x7f800000, v9
	v_cmp_ne_u32_e64 s2, 0x7f800000, v5
                                        ; implicit-def: $vgpr5
	s_delay_alu instid0(VALU_DEP_1) | instskip(NEXT) | instid1(SALU_CYCLE_1)
	s_and_saveexec_b32 s3, s2
	s_xor_b32 s2, exec_lo, s3
; %bb.7:
	v_bfe_u32 v5, v9, 16, 1
	s_delay_alu instid0(VALU_DEP_1)
	v_add3_u32 v5, v9, v5, 0x7fff
                                        ; implicit-def: $vgpr9
; %bb.8:
	s_and_not1_saveexec_b32 s3, s2
; %bb.9:
	v_and_b32_e32 v5, 0xffff, v9
	v_or_b32_e32 v10, 0x10000, v9
	s_delay_alu instid0(VALU_DEP_2) | instskip(NEXT) | instid1(VALU_DEP_1)
	v_cmp_eq_u32_e64 s2, 0, v5
	v_cndmask_b32_e64 v5, v10, v9, s2
; %bb.10:
	s_or_b32 exec_lo, exec_lo, s3
	v_mul_f32_e32 v9, s7, v6
	s_delay_alu instid0(VALU_DEP_1) | instskip(NEXT) | instid1(VALU_DEP_1)
	v_and_b32_e32 v6, 0x7f800000, v9
	v_cmp_ne_u32_e64 s2, 0x7f800000, v6
                                        ; implicit-def: $vgpr6
	s_delay_alu instid0(VALU_DEP_1) | instskip(NEXT) | instid1(SALU_CYCLE_1)
	s_and_saveexec_b32 s3, s2
	s_xor_b32 s2, exec_lo, s3
; %bb.11:
	v_bfe_u32 v6, v9, 16, 1
	s_delay_alu instid0(VALU_DEP_1)
	v_add3_u32 v6, v9, v6, 0x7fff
                                        ; implicit-def: $vgpr9
; %bb.12:
	s_and_not1_saveexec_b32 s3, s2
; %bb.13:
	v_and_b32_e32 v6, 0xffff, v9
	v_or_b32_e32 v10, 0x10000, v9
	s_delay_alu instid0(VALU_DEP_2) | instskip(NEXT) | instid1(VALU_DEP_1)
	v_cmp_eq_u32_e64 s2, 0, v6
	v_cndmask_b32_e64 v6, v10, v9, s2
; %bb.14:
	s_or_b32 exec_lo, exec_lo, s3
	v_mul_f32_e32 v9, s7, v7
	s_delay_alu instid0(VALU_DEP_1) | instskip(NEXT) | instid1(VALU_DEP_1)
	v_and_b32_e32 v7, 0x7f800000, v9
	v_cmp_ne_u32_e64 s2, 0x7f800000, v7
                                        ; implicit-def: $vgpr7
	s_delay_alu instid0(VALU_DEP_1) | instskip(NEXT) | instid1(SALU_CYCLE_1)
	s_and_saveexec_b32 s3, s2
	s_xor_b32 s2, exec_lo, s3
; %bb.15:
	v_bfe_u32 v7, v9, 16, 1
	s_delay_alu instid0(VALU_DEP_1)
	v_add3_u32 v7, v9, v7, 0x7fff
                                        ; implicit-def: $vgpr9
; %bb.16:
	s_and_not1_saveexec_b32 s3, s2
; %bb.17:
	v_and_b32_e32 v7, 0xffff, v9
	v_or_b32_e32 v10, 0x10000, v9
	s_delay_alu instid0(VALU_DEP_2) | instskip(NEXT) | instid1(VALU_DEP_1)
	v_cmp_eq_u32_e64 s2, 0, v7
	v_cndmask_b32_e64 v7, v10, v9, s2
; %bb.18:
	s_or_b32 exec_lo, exec_lo, s3
	s_waitcnt lgkmcnt(0)
	v_mul_f32_e32 v9, s7, v0
	s_delay_alu instid0(VALU_DEP_1) | instskip(NEXT) | instid1(VALU_DEP_1)
	v_and_b32_e32 v0, 0x7f800000, v9
	v_cmp_ne_u32_e64 s2, 0x7f800000, v0
                                        ; implicit-def: $vgpr0
	s_delay_alu instid0(VALU_DEP_1) | instskip(NEXT) | instid1(SALU_CYCLE_1)
	s_and_saveexec_b32 s3, s2
	s_xor_b32 s2, exec_lo, s3
; %bb.19:
	v_bfe_u32 v0, v9, 16, 1
	s_delay_alu instid0(VALU_DEP_1)
	v_add3_u32 v0, v9, v0, 0x7fff
                                        ; implicit-def: $vgpr9
; %bb.20:
	s_and_not1_saveexec_b32 s3, s2
; %bb.21:
	v_and_b32_e32 v0, 0xffff, v9
	v_or_b32_e32 v10, 0x10000, v9
	s_delay_alu instid0(VALU_DEP_2) | instskip(NEXT) | instid1(VALU_DEP_1)
	v_cmp_eq_u32_e64 s2, 0, v0
	v_cndmask_b32_e64 v0, v10, v9, s2
; %bb.22:
	s_or_b32 exec_lo, exec_lo, s3
	v_mul_f32_e32 v9, s7, v1
	s_delay_alu instid0(VALU_DEP_1) | instskip(NEXT) | instid1(VALU_DEP_1)
	v_and_b32_e32 v1, 0x7f800000, v9
	v_cmp_ne_u32_e64 s2, 0x7f800000, v1
                                        ; implicit-def: $vgpr1
	s_delay_alu instid0(VALU_DEP_1) | instskip(NEXT) | instid1(SALU_CYCLE_1)
	s_and_saveexec_b32 s3, s2
	s_xor_b32 s2, exec_lo, s3
; %bb.23:
	v_bfe_u32 v1, v9, 16, 1
	s_delay_alu instid0(VALU_DEP_1)
	v_add3_u32 v1, v9, v1, 0x7fff
                                        ; implicit-def: $vgpr9
; %bb.24:
	s_and_not1_saveexec_b32 s3, s2
; %bb.25:
	v_and_b32_e32 v1, 0xffff, v9
	v_or_b32_e32 v10, 0x10000, v9
	s_delay_alu instid0(VALU_DEP_2) | instskip(NEXT) | instid1(VALU_DEP_1)
	v_cmp_eq_u32_e64 s2, 0, v1
	v_cndmask_b32_e64 v1, v10, v9, s2
; %bb.26:
	s_or_b32 exec_lo, exec_lo, s3
	v_mul_f32_e32 v9, s7, v2
	s_delay_alu instid0(VALU_DEP_1) | instskip(NEXT) | instid1(VALU_DEP_1)
	v_and_b32_e32 v2, 0x7f800000, v9
	v_cmp_ne_u32_e64 s2, 0x7f800000, v2
                                        ; implicit-def: $vgpr2
	s_delay_alu instid0(VALU_DEP_1) | instskip(NEXT) | instid1(SALU_CYCLE_1)
	s_and_saveexec_b32 s3, s2
	s_xor_b32 s2, exec_lo, s3
; %bb.27:
	v_bfe_u32 v2, v9, 16, 1
	s_delay_alu instid0(VALU_DEP_1)
	v_add3_u32 v2, v9, v2, 0x7fff
                                        ; implicit-def: $vgpr9
; %bb.28:
	s_and_not1_saveexec_b32 s3, s2
; %bb.29:
	v_and_b32_e32 v2, 0xffff, v9
	v_or_b32_e32 v10, 0x10000, v9
	s_delay_alu instid0(VALU_DEP_2) | instskip(NEXT) | instid1(VALU_DEP_1)
	v_cmp_eq_u32_e64 s2, 0, v2
	v_cndmask_b32_e64 v2, v10, v9, s2
; %bb.30:
	s_or_b32 exec_lo, exec_lo, s3
	v_mul_f32_e32 v9, s7, v3
	s_delay_alu instid0(VALU_DEP_1) | instskip(NEXT) | instid1(VALU_DEP_1)
	v_and_b32_e32 v3, 0x7f800000, v9
	v_cmp_ne_u32_e64 s2, 0x7f800000, v3
                                        ; implicit-def: $vgpr3
	s_delay_alu instid0(VALU_DEP_1) | instskip(NEXT) | instid1(SALU_CYCLE_1)
	s_and_saveexec_b32 s3, s2
	s_xor_b32 s2, exec_lo, s3
	s_cbranch_execnz .LBB33_34
; %bb.31:
	s_and_not1_saveexec_b32 s3, s2
	s_cbranch_execnz .LBB33_35
.LBB33_32:
	s_or_b32 exec_lo, exec_lo, s3
	s_and_saveexec_b32 s2, vcc_lo
	s_cbranch_execnz .LBB33_36
.LBB33_33:
	s_endpgm
.LBB33_34:
	v_bfe_u32 v3, v9, 16, 1
	s_delay_alu instid0(VALU_DEP_1)
	v_add3_u32 v3, v9, v3, 0x7fff
                                        ; implicit-def: $vgpr9
	s_and_not1_saveexec_b32 s3, s2
	s_cbranch_execz .LBB33_32
.LBB33_35:
	v_and_b32_e32 v3, 0xffff, v9
	v_or_b32_e32 v10, 0x10000, v9
	s_delay_alu instid0(VALU_DEP_2) | instskip(NEXT) | instid1(VALU_DEP_1)
	v_cmp_eq_u32_e64 s2, 0, v3
	v_cndmask_b32_e64 v3, v10, v9, s2
	s_or_b32 exec_lo, exec_lo, s3
	s_and_saveexec_b32 s2, vcc_lo
	s_cbranch_execz .LBB33_33
.LBB33_36:
	s_clause 0x1
	s_load_b64 s[2:3], s[0:1], 0x18
	s_load_b64 s[0:1], s[0:1], 0x30
	v_perm_b32 v3, v3, v2, 0x7060302
	v_perm_b32 v2, v1, v0, 0x7060302
	;; [unrolled: 1-line block ×4, first 2 shown]
	s_waitcnt lgkmcnt(0)
	s_mul_i32 s4, s2, s6
	s_mul_hi_u32 s5, s2, s15
	s_mul_i32 s3, s3, s15
	s_add_i32 s4, s5, s4
	s_mul_i32 s2, s2, s15
	s_add_i32 s3, s4, s3
	s_delay_alu instid0(SALU_CYCLE_1) | instskip(NEXT) | instid1(SALU_CYCLE_1)
	s_lshl_b64 s[2:3], s[2:3], 1
	s_add_u32 s0, s0, s2
	s_addc_u32 s1, s1, s3
	global_store_b128 v8, v[0:3], s[0:1]
	s_nop 0
	s_sendmsg sendmsg(MSG_DEALLOC_VGPRS)
	s_endpgm
	.section	.rodata,"a",@progbits
	.p2align	6, 0x0
	.amdhsa_kernel _Z30fast_hadamard_transform_kernelI37fast_hadamard_transform_kernel_traitsILi128ELi10E14__hip_bfloat16EEv18HadamardParamsBase
		.amdhsa_group_segment_fixed_size 0
		.amdhsa_private_segment_fixed_size 0
		.amdhsa_kernarg_size 56
		.amdhsa_user_sgpr_count 15
		.amdhsa_user_sgpr_dispatch_ptr 0
		.amdhsa_user_sgpr_queue_ptr 0
		.amdhsa_user_sgpr_kernarg_segment_ptr 1
		.amdhsa_user_sgpr_dispatch_id 0
		.amdhsa_user_sgpr_private_segment_size 0
		.amdhsa_wavefront_size32 1
		.amdhsa_uses_dynamic_stack 0
		.amdhsa_enable_private_segment 0
		.amdhsa_system_sgpr_workgroup_id_x 1
		.amdhsa_system_sgpr_workgroup_id_y 0
		.amdhsa_system_sgpr_workgroup_id_z 0
		.amdhsa_system_sgpr_workgroup_info 0
		.amdhsa_system_vgpr_workitem_id 0
		.amdhsa_next_free_vgpr 23
		.amdhsa_next_free_sgpr 16
		.amdhsa_reserve_vcc 1
		.amdhsa_float_round_mode_32 0
		.amdhsa_float_round_mode_16_64 0
		.amdhsa_float_denorm_mode_32 3
		.amdhsa_float_denorm_mode_16_64 3
		.amdhsa_dx10_clamp 1
		.amdhsa_ieee_mode 1
		.amdhsa_fp16_overflow 0
		.amdhsa_workgroup_processor_mode 1
		.amdhsa_memory_ordered 1
		.amdhsa_forward_progress 0
		.amdhsa_shared_vgpr_count 0
		.amdhsa_exception_fp_ieee_invalid_op 0
		.amdhsa_exception_fp_denorm_src 0
		.amdhsa_exception_fp_ieee_div_zero 0
		.amdhsa_exception_fp_ieee_overflow 0
		.amdhsa_exception_fp_ieee_underflow 0
		.amdhsa_exception_fp_ieee_inexact 0
		.amdhsa_exception_int_div_zero 0
	.end_amdhsa_kernel
	.section	.text._Z30fast_hadamard_transform_kernelI37fast_hadamard_transform_kernel_traitsILi128ELi10E14__hip_bfloat16EEv18HadamardParamsBase,"axG",@progbits,_Z30fast_hadamard_transform_kernelI37fast_hadamard_transform_kernel_traitsILi128ELi10E14__hip_bfloat16EEv18HadamardParamsBase,comdat
.Lfunc_end33:
	.size	_Z30fast_hadamard_transform_kernelI37fast_hadamard_transform_kernel_traitsILi128ELi10E14__hip_bfloat16EEv18HadamardParamsBase, .Lfunc_end33-_Z30fast_hadamard_transform_kernelI37fast_hadamard_transform_kernel_traitsILi128ELi10E14__hip_bfloat16EEv18HadamardParamsBase
                                        ; -- End function
	.section	.AMDGPU.csdata,"",@progbits
; Kernel info:
; codeLenInByte = 3008
; NumSgprs: 18
; NumVgprs: 23
; ScratchSize: 0
; MemoryBound: 0
; FloatMode: 240
; IeeeMode: 1
; LDSByteSize: 0 bytes/workgroup (compile time only)
; SGPRBlocks: 2
; VGPRBlocks: 2
; NumSGPRsForWavesPerEU: 18
; NumVGPRsForWavesPerEU: 23
; Occupancy: 16
; WaveLimiterHint : 0
; COMPUTE_PGM_RSRC2:SCRATCH_EN: 0
; COMPUTE_PGM_RSRC2:USER_SGPR: 15
; COMPUTE_PGM_RSRC2:TRAP_HANDLER: 0
; COMPUTE_PGM_RSRC2:TGID_X_EN: 1
; COMPUTE_PGM_RSRC2:TGID_Y_EN: 0
; COMPUTE_PGM_RSRC2:TGID_Z_EN: 0
; COMPUTE_PGM_RSRC2:TIDIG_COMP_CNT: 0
	.section	.text._Z30fast_hadamard_transform_kernelI37fast_hadamard_transform_kernel_traitsILi256ELi11E14__hip_bfloat16EEv18HadamardParamsBase,"axG",@progbits,_Z30fast_hadamard_transform_kernelI37fast_hadamard_transform_kernel_traitsILi256ELi11E14__hip_bfloat16EEv18HadamardParamsBase,comdat
	.protected	_Z30fast_hadamard_transform_kernelI37fast_hadamard_transform_kernel_traitsILi256ELi11E14__hip_bfloat16EEv18HadamardParamsBase ; -- Begin function _Z30fast_hadamard_transform_kernelI37fast_hadamard_transform_kernel_traitsILi256ELi11E14__hip_bfloat16EEv18HadamardParamsBase
	.globl	_Z30fast_hadamard_transform_kernelI37fast_hadamard_transform_kernel_traitsILi256ELi11E14__hip_bfloat16EEv18HadamardParamsBase
	.p2align	8
	.type	_Z30fast_hadamard_transform_kernelI37fast_hadamard_transform_kernel_traitsILi256ELi11E14__hip_bfloat16EEv18HadamardParamsBase,@function
_Z30fast_hadamard_transform_kernelI37fast_hadamard_transform_kernel_traitsILi256ELi11E14__hip_bfloat16EEv18HadamardParamsBase: ; @_Z30fast_hadamard_transform_kernelI37fast_hadamard_transform_kernel_traitsILi256ELi11E14__hip_bfloat16EEv18HadamardParamsBase
; %bb.0:
	s_clause 0x1
	s_load_b32 s2, s[0:1], 0x4
	s_load_b32 s8, s[0:1], 0x20
	v_dual_mov_b32 v6, 0 :: v_dual_lshlrev_b32 v9, 3, v0
	v_dual_mov_b32 v1, 0 :: v_dual_mov_b32 v2, 0
	v_dual_mov_b32 v3, 0 :: v_dual_mov_b32 v4, 0
	v_dual_mov_b32 v5, 0 :: v_dual_lshlrev_b32 v8, 4, v0
	v_mov_b32_e32 v7, 0
	s_ashr_i32 s7, s15, 31
	s_waitcnt lgkmcnt(0)
	v_cmp_gt_u32_e32 vcc_lo, s2, v9
	v_mov_b32_e32 v9, 0
	s_and_saveexec_b32 s2, vcc_lo
	s_cbranch_execz .LBB34_2
; %bb.1:
	s_clause 0x1
	s_load_b64 s[4:5], s[0:1], 0x10
	s_load_b64 s[10:11], s[0:1], 0x28
	s_waitcnt lgkmcnt(0)
	s_mul_i32 s3, s4, s7
	s_mul_hi_u32 s6, s4, s15
	s_mul_i32 s5, s5, s15
	s_add_i32 s3, s6, s3
	s_mul_i32 s4, s4, s15
	s_add_i32 s5, s3, s5
	s_delay_alu instid0(SALU_CYCLE_1) | instskip(NEXT) | instid1(SALU_CYCLE_1)
	s_lshl_b64 s[4:5], s[4:5], 1
	s_add_u32 s4, s10, s4
	s_addc_u32 s5, s11, s5
	global_load_b128 v[10:13], v8, s[4:5]
	s_waitcnt vmcnt(0)
	v_and_b32_e32 v9, 0xffff0000, v10
	v_lshlrev_b32_e32 v7, 16, v10
	v_and_b32_e32 v6, 0xffff0000, v11
	v_lshlrev_b32_e32 v5, 16, v11
	;; [unrolled: 2-line block ×4, first 2 shown]
.LBB34_2:
	s_or_b32 exec_lo, exec_lo, s2
	v_mbcnt_lo_u32_b32 v11, -1, 0
	v_dual_add_f32 v10, v9, v7 :: v_dual_sub_f32 v7, v7, v9
	v_add_f32_e32 v9, v6, v5
	v_sub_f32_e32 v5, v5, v6
	s_delay_alu instid0(VALU_DEP_4) | instskip(SKIP_1) | instid1(VALU_DEP_3)
	v_xor_b32_e32 v12, 1, v11
	v_dual_add_f32 v6, v4, v3 :: v_dual_sub_f32 v3, v3, v4
	v_dual_add_f32 v4, v2, v1 :: v_dual_add_f32 v13, v5, v7
	s_delay_alu instid0(VALU_DEP_3) | instskip(SKIP_2) | instid1(VALU_DEP_4)
	v_cmp_gt_i32_e64 s2, 32, v12
	v_sub_f32_e32 v5, v7, v5
	v_xor_b32_e32 v20, 2, v11
	v_add_f32_e32 v14, v4, v6
	v_sub_f32_e32 v4, v6, v4
	v_cndmask_b32_e64 v12, v11, v12, s2
	v_sub_f32_e32 v1, v1, v2
	v_dual_add_f32 v2, v9, v10 :: v_dual_sub_f32 v9, v10, v9
	v_cmp_gt_i32_e64 s3, 32, v20
	s_delay_alu instid0(VALU_DEP_3) | instskip(NEXT) | instid1(VALU_DEP_3)
	v_dual_add_f32 v15, v1, v3 :: v_dual_lshlrev_b32 v16, 2, v12
	v_dual_add_f32 v10, v14, v2 :: v_dual_sub_f32 v1, v3, v1
	v_sub_f32_e32 v2, v2, v14
	v_and_b32_e32 v14, 1, v0
	s_delay_alu instid0(VALU_DEP_4)
	v_dual_add_f32 v12, v15, v13 :: v_dual_sub_f32 v13, v13, v15
	ds_bpermute_b32 v3, v16, v10
	v_dual_add_f32 v7, v4, v9 :: v_dual_sub_f32 v4, v9, v4
	ds_bpermute_b32 v6, v16, v12
	v_cmp_eq_u32_e64 s2, 0, v14
	ds_bpermute_b32 v14, v16, v13
	ds_bpermute_b32 v15, v16, v7
	;; [unrolled: 1-line block ×3, first 2 shown]
	v_xor_b32_e32 v22, 4, v11
	v_cndmask_b32_e64 v9, -v10, v10, s2
	v_cndmask_b32_e64 v10, -v12, v12, s2
	v_add_f32_e32 v17, v1, v5
	v_cndmask_b32_e64 v2, -v2, v2, s2
	v_sub_f32_e32 v1, v5, v1
	v_cndmask_b32_e64 v5, v11, v20, s3
	v_cndmask_b32_e64 v7, -v7, v7, s2
	v_cndmask_b32_e64 v12, -v13, v13, s2
	v_cmp_gt_i32_e64 s4, 32, v22
	s_waitcnt lgkmcnt(0)
	s_barrier
	v_add_f32_e32 v3, v9, v3
	buffer_gl0_inv
	v_add_f32_e32 v6, v10, v6
	ds_bpermute_b32 v18, v16, v17
	v_add_f32_e32 v12, v12, v14
	v_cndmask_b32_e64 v9, -v17, v17, s2
	v_lshlrev_b32_e32 v17, 2, v5
	v_dual_add_f32 v7, v7, v15 :: v_dual_and_b32 v14, 2, v0
	v_add_f32_e32 v2, v2, v19
	ds_bpermute_b32 v10, v16, v1
	ds_bpermute_b32 v15, v17, v6
	;; [unrolled: 1-line block ×3, first 2 shown]
	v_cmp_eq_u32_e64 s3, 0, v14
	v_cndmask_b32_e64 v1, -v1, v1, s2
	v_cndmask_b32_e64 v4, -v4, v4, s2
	s_delay_alu instid0(VALU_DEP_3) | instskip(SKIP_1) | instid1(VALU_DEP_1)
	v_cndmask_b32_e64 v6, -v6, v6, s3
	s_waitcnt lgkmcnt(1)
	v_dual_add_f32 v9, v9, v18 :: v_dual_add_f32 v6, v6, v15
	s_waitcnt lgkmcnt(0)
	v_add_f32_e32 v4, v4, v5
	ds_bpermute_b32 v20, v17, v2
	ds_bpermute_b32 v13, v17, v3
	;; [unrolled: 1-line block ×4, first 2 shown]
	v_cndmask_b32_e64 v2, -v2, v2, s3
	v_add_f32_e32 v1, v1, v10
	v_cndmask_b32_e64 v3, -v3, v3, s3
	v_cndmask_b32_e64 v5, v11, v22, s4
	v_cndmask_b32_e64 v7, -v7, v7, s3
	v_cndmask_b32_e64 v12, -v12, v12, s3
	v_and_b32_e32 v15, 4, v0
	ds_bpermute_b32 v19, v17, v9
	v_cndmask_b32_e64 v9, -v9, v9, s3
	v_xor_b32_e32 v22, 8, v11
	v_cmp_eq_u32_e64 s4, 0, v15
	s_delay_alu instid0(VALU_DEP_2)
	v_cmp_gt_i32_e64 s5, 32, v22
	s_waitcnt lgkmcnt(4)
	v_add_f32_e32 v2, v2, v20
	ds_bpermute_b32 v10, v17, v1
	s_waitcnt lgkmcnt(4)
	v_add_f32_e32 v3, v3, v13
	v_lshlrev_b32_e32 v13, 2, v5
	s_waitcnt lgkmcnt(2)
	v_dual_add_f32 v7, v7, v18 :: v_dual_add_f32 v12, v12, v21
	v_cndmask_b32_e64 v1, -v1, v1, s3
	ds_bpermute_b32 v5, v17, v4
	v_cndmask_b32_e64 v4, -v4, v4, s3
	s_waitcnt lgkmcnt(2)
	v_add_f32_e32 v9, v9, v19
	s_waitcnt lgkmcnt(1)
	v_add_f32_e32 v1, v1, v10
	ds_bpermute_b32 v10, v13, v12
	v_cndmask_b32_e64 v12, -v12, v12, s4
	s_waitcnt lgkmcnt(1)
	v_add_f32_e32 v4, v4, v5
	v_cndmask_b32_e64 v5, v11, v22, s5
	s_waitcnt lgkmcnt(0)
	s_delay_alu instid0(VALU_DEP_1)
	v_dual_add_f32 v10, v12, v10 :: v_dual_lshlrev_b32 v5, 2, v5
	ds_bpermute_b32 v18, v13, v6
	v_cndmask_b32_e64 v6, -v6, v6, s4
	ds_bpermute_b32 v19, v13, v7
	v_cndmask_b32_e64 v7, -v7, v7, s4
	ds_bpermute_b32 v21, v13, v2
	ds_bpermute_b32 v20, v13, v9
	v_cndmask_b32_e64 v2, -v2, v2, s4
	v_cndmask_b32_e64 v9, -v9, v9, s4
	v_xor_b32_e32 v12, 16, v11
	s_delay_alu instid0(VALU_DEP_1) | instskip(NEXT) | instid1(VALU_DEP_1)
	v_cmp_gt_i32_e64 s6, 32, v12
	v_cndmask_b32_e64 v11, v11, v12, s6
	s_waitcnt lgkmcnt(3)
	v_add_f32_e32 v6, v6, v18
	ds_bpermute_b32 v14, v13, v3
	v_and_b32_e32 v18, 8, v0
	v_cndmask_b32_e64 v3, -v3, v3, s4
	s_waitcnt lgkmcnt(3)
	v_add_f32_e32 v7, v7, v19
	ds_bpermute_b32 v19, v5, v6
	ds_bpermute_b32 v15, v13, v1
	v_cmp_eq_u32_e64 s5, 0, v18
	s_waitcnt lgkmcnt(4)
	v_add_f32_e32 v2, v2, v21
	v_cndmask_b32_e64 v1, -v1, v1, s4
	v_lshlrev_b32_e32 v11, 2, v11
	v_cndmask_b32_e64 v6, -v6, v6, s5
	s_waitcnt lgkmcnt(2)
	v_add_f32_e32 v3, v3, v14
	ds_bpermute_b32 v14, v13, v4
	v_cndmask_b32_e64 v4, -v4, v4, s4
	s_waitcnt lgkmcnt(2)
	v_add_f32_e32 v6, v6, v19
	s_waitcnt lgkmcnt(0)
	s_delay_alu instid0(VALU_DEP_2)
	v_dual_add_f32 v1, v1, v15 :: v_dual_add_f32 v4, v4, v14
	ds_bpermute_b32 v14, v5, v10
	ds_bpermute_b32 v22, v5, v3
	;; [unrolled: 1-line block ×3, first 2 shown]
	v_cndmask_b32_e64 v10, -v10, v10, s5
	v_add_f32_e32 v9, v9, v20
	ds_bpermute_b32 v15, v5, v4
	v_cndmask_b32_e64 v3, -v3, v3, s5
	v_cndmask_b32_e64 v2, -v2, v2, s5
	v_cndmask_b32_e64 v4, -v4, v4, s5
	s_waitcnt lgkmcnt(3)
	v_add_f32_e32 v10, v10, v14
	ds_bpermute_b32 v18, v5, v9
	s_waitcnt lgkmcnt(3)
	v_add_f32_e32 v3, v3, v22
	v_cndmask_b32_e64 v9, -v9, v9, s5
	s_waitcnt lgkmcnt(2)
	v_add_f32_e32 v2, v2, v21
	s_waitcnt lgkmcnt(1)
	v_add_f32_e32 v14, v4, v15
	ds_bpermute_b32 v20, v5, v7
	v_and_b32_e32 v22, 16, v0
	ds_bpermute_b32 v5, v5, v1
	ds_bpermute_b32 v15, v11, v10
	v_cndmask_b32_e64 v7, -v7, v7, s5
	v_cndmask_b32_e64 v1, -v1, v1, s5
	v_cmp_eq_u32_e64 s5, 0, v22
	ds_bpermute_b32 v12, v11, v3
	ds_bpermute_b32 v21, v11, v2
	v_cndmask_b32_e64 v10, -v10, v10, s5
	s_waitcnt lgkmcnt(5)
	v_add_f32_e32 v9, v9, v18
	ds_bpermute_b32 v18, v11, v6
	s_waitcnt lgkmcnt(5)
	v_add_f32_e32 v7, v7, v20
	s_waitcnt lgkmcnt(4)
	v_add_f32_e32 v5, v1, v5
	v_cndmask_b32_e64 v1, -v3, v3, s5
	v_cndmask_b32_e64 v3, -v6, v6, s5
	s_waitcnt lgkmcnt(3)
	v_add_f32_e32 v10, v10, v15
	ds_bpermute_b32 v19, v11, v7
	v_cndmask_b32_e64 v4, -v7, v7, s5
	v_cndmask_b32_e64 v7, -v2, v2, s5
	;; [unrolled: 1-line block ×3, first 2 shown]
	s_waitcnt lgkmcnt(3)
	v_add_f32_e32 v1, v1, v12
	v_cndmask_b32_e64 v12, -v14, v14, s5
	s_waitcnt lgkmcnt(1)
	v_add_f32_e32 v2, v3, v18
	ds_bpermute_b32 v20, v11, v9
	ds_bpermute_b32 v22, v11, v14
	s_waitcnt lgkmcnt(1)
	v_dual_add_f32 v3, v4, v19 :: v_dual_add_f32 v4, v6, v20
	v_and_b32_e32 v6, 7, v0
	ds_bpermute_b32 v23, v11, v5
	v_cndmask_b32_e64 v5, -v5, v5, s5
	v_add_f32_e32 v9, v7, v21
	v_lshrrev_b32_e32 v7, 3, v0
	v_lshrrev_b32_e32 v11, 5, v0
	s_delay_alu instid0(VALU_DEP_2) | instskip(NEXT) | instid1(VALU_DEP_2)
	v_lshl_or_b32 v7, v6, 5, v7
	v_xor_b32_e32 v0, v11, v0
	s_waitcnt lgkmcnt(1)
	v_add_f32_e32 v11, v12, v22
	s_delay_alu instid0(VALU_DEP_2)
	v_lshl_add_u32 v14, v0, 4, 0
	s_waitcnt lgkmcnt(0)
	v_add_f32_e32 v12, v5, v23
	v_xor_b32_e32 v5, v7, v6
	ds_store_b128 v14, v[1:4]
	ds_store_b128 v14, v[9:12] offset:4096
	s_waitcnt lgkmcnt(0)
	v_lshl_add_u32 v15, v5, 4, 0
	s_barrier
	buffer_gl0_inv
	ds_load_b128 v[0:3], v15
	ds_load_b128 v[4:7], v15 offset:4096
	s_waitcnt lgkmcnt(0)
	s_barrier
	buffer_gl0_inv
	ds_bpermute_b32 v9, v16, v0
	ds_bpermute_b32 v10, v16, v1
	ds_bpermute_b32 v11, v16, v2
	ds_bpermute_b32 v12, v16, v3
	ds_bpermute_b32 v18, v16, v4
	ds_bpermute_b32 v19, v16, v5
	ds_bpermute_b32 v20, v16, v6
	ds_bpermute_b32 v16, v16, v7
	v_cndmask_b32_e64 v0, -v0, v0, s2
	v_cndmask_b32_e64 v1, -v1, v1, s2
	v_cndmask_b32_e64 v2, -v2, v2, s2
	v_cndmask_b32_e64 v3, -v3, v3, s2
	v_cndmask_b32_e64 v4, -v4, v4, s2
	v_cndmask_b32_e64 v7, -v7, v7, s2
	v_cndmask_b32_e64 v5, -v5, v5, s2
	v_cndmask_b32_e64 v6, -v6, v6, s2
	s_waitcnt lgkmcnt(6)
	v_dual_add_f32 v0, v0, v9 :: v_dual_add_f32 v1, v1, v10
	s_waitcnt lgkmcnt(4)
	v_dual_add_f32 v2, v2, v11 :: v_dual_add_f32 v3, v3, v12
	s_waitcnt lgkmcnt(3)
	v_add_f32_e32 v4, v4, v18
	ds_bpermute_b32 v9, v17, v0
	ds_bpermute_b32 v10, v17, v1
	;; [unrolled: 1-line block ×3, first 2 shown]
	v_cndmask_b32_e64 v2, -v2, v2, s3
	s_waitcnt lgkmcnt(3)
	v_add_f32_e32 v7, v7, v16
	ds_bpermute_b32 v16, v17, v4
	v_cndmask_b32_e64 v0, -v0, v0, s3
	v_dual_add_f32 v5, v5, v19 :: v_dual_add_f32 v6, v6, v20
	v_cndmask_b32_e64 v1, -v1, v1, s3
	v_cndmask_b32_e64 v4, -v4, v4, s3
	ds_bpermute_b32 v12, v17, v3
	v_cndmask_b32_e64 v3, -v3, v3, s3
	ds_bpermute_b32 v19, v17, v6
	v_cndmask_b32_e64 v6, -v6, v6, s3
	s_waitcnt lgkmcnt(5)
	v_add_f32_e32 v0, v0, v9
	ds_bpermute_b32 v18, v17, v5
	s_waitcnt lgkmcnt(4)
	v_dual_add_f32 v1, v1, v10 :: v_dual_add_f32 v2, v2, v11
	ds_bpermute_b32 v17, v17, v7
	s_waitcnt lgkmcnt(4)
	v_add_f32_e32 v4, v4, v16
	ds_bpermute_b32 v9, v13, v0
	v_cndmask_b32_e64 v5, -v5, v5, s3
	ds_bpermute_b32 v11, v13, v2
	v_cndmask_b32_e64 v7, -v7, v7, s3
	;; [unrolled: 2-line block ×3, first 2 shown]
	s_waitcnt lgkmcnt(5)
	v_dual_add_f32 v3, v3, v12 :: v_dual_add_f32 v6, v6, v19
	v_cndmask_b32_e64 v2, -v2, v2, s4
	v_cndmask_b32_e64 v4, -v4, v4, s4
	ds_bpermute_b32 v10, v13, v1
	v_cndmask_b32_e64 v1, -v1, v1, s4
	s_waitcnt lgkmcnt(5)
	v_add_f32_e32 v5, v5, v18
	ds_bpermute_b32 v18, v13, v6
	v_cndmask_b32_e64 v6, -v6, v6, s4
	s_waitcnt lgkmcnt(5)
	v_add_f32_e32 v7, v7, v17
	s_waitcnt lgkmcnt(4)
	v_add_f32_e32 v0, v0, v9
	ds_bpermute_b32 v12, v13, v3
	s_waitcnt lgkmcnt(4)
	v_add_f32_e32 v2, v2, v11
	ds_bpermute_b32 v17, v13, v5
	;; [unrolled: 3-line block ×3, first 2 shown]
	v_cndmask_b32_e64 v3, -v3, v3, s4
	v_cndmask_b32_e64 v5, -v5, v5, s4
	v_cndmask_b32_e64 v7, -v7, v7, s4
	s_waitcnt lgkmcnt(4)
	v_add_f32_e32 v1, v1, v10
	s_waitcnt lgkmcnt(2)
	v_dual_add_f32 v6, v6, v18 :: v_dual_add_f32 v3, v3, v12
	s_waitcnt lgkmcnt(1)
	v_add_f32_e32 v5, v5, v17
	s_waitcnt lgkmcnt(0)
	v_add_f32_e32 v7, v7, v13
	ds_store_b128 v15, v[0:3]
	ds_store_b128 v15, v[4:7] offset:4096
	s_waitcnt lgkmcnt(0)
	s_barrier
	buffer_gl0_inv
	ds_load_b128 v[4:7], v14
	ds_load_b128 v[0:3], v14 offset:4096
	s_waitcnt lgkmcnt(1)
	v_mul_f32_e32 v9, s8, v4
	s_delay_alu instid0(VALU_DEP_1) | instskip(NEXT) | instid1(VALU_DEP_1)
	v_and_b32_e32 v4, 0x7f800000, v9
	v_cmp_ne_u32_e64 s2, 0x7f800000, v4
                                        ; implicit-def: $vgpr4
	s_delay_alu instid0(VALU_DEP_1) | instskip(NEXT) | instid1(SALU_CYCLE_1)
	s_and_saveexec_b32 s3, s2
	s_xor_b32 s2, exec_lo, s3
; %bb.3:
	v_bfe_u32 v4, v9, 16, 1
	s_delay_alu instid0(VALU_DEP_1)
	v_add3_u32 v4, v9, v4, 0x7fff
                                        ; implicit-def: $vgpr9
; %bb.4:
	s_and_not1_saveexec_b32 s3, s2
; %bb.5:
	v_and_b32_e32 v4, 0xffff, v9
	v_or_b32_e32 v10, 0x10000, v9
	s_delay_alu instid0(VALU_DEP_2) | instskip(NEXT) | instid1(VALU_DEP_1)
	v_cmp_eq_u32_e64 s2, 0, v4
	v_cndmask_b32_e64 v4, v10, v9, s2
; %bb.6:
	s_or_b32 exec_lo, exec_lo, s3
	v_mul_f32_e32 v9, s8, v5
	s_delay_alu instid0(VALU_DEP_1) | instskip(NEXT) | instid1(VALU_DEP_1)
	v_and_b32_e32 v5, 0x7f800000, v9
	v_cmp_ne_u32_e64 s2, 0x7f800000, v5
                                        ; implicit-def: $vgpr5
	s_delay_alu instid0(VALU_DEP_1) | instskip(NEXT) | instid1(SALU_CYCLE_1)
	s_and_saveexec_b32 s3, s2
	s_xor_b32 s2, exec_lo, s3
; %bb.7:
	v_bfe_u32 v5, v9, 16, 1
	s_delay_alu instid0(VALU_DEP_1)
	v_add3_u32 v5, v9, v5, 0x7fff
                                        ; implicit-def: $vgpr9
; %bb.8:
	s_and_not1_saveexec_b32 s3, s2
; %bb.9:
	v_and_b32_e32 v5, 0xffff, v9
	v_or_b32_e32 v10, 0x10000, v9
	s_delay_alu instid0(VALU_DEP_2) | instskip(NEXT) | instid1(VALU_DEP_1)
	v_cmp_eq_u32_e64 s2, 0, v5
	v_cndmask_b32_e64 v5, v10, v9, s2
; %bb.10:
	s_or_b32 exec_lo, exec_lo, s3
	v_mul_f32_e32 v9, s8, v6
	s_delay_alu instid0(VALU_DEP_1) | instskip(NEXT) | instid1(VALU_DEP_1)
	v_and_b32_e32 v6, 0x7f800000, v9
	v_cmp_ne_u32_e64 s2, 0x7f800000, v6
                                        ; implicit-def: $vgpr6
	s_delay_alu instid0(VALU_DEP_1) | instskip(NEXT) | instid1(SALU_CYCLE_1)
	s_and_saveexec_b32 s3, s2
	s_xor_b32 s2, exec_lo, s3
; %bb.11:
	v_bfe_u32 v6, v9, 16, 1
	s_delay_alu instid0(VALU_DEP_1)
	v_add3_u32 v6, v9, v6, 0x7fff
                                        ; implicit-def: $vgpr9
; %bb.12:
	s_and_not1_saveexec_b32 s3, s2
; %bb.13:
	v_and_b32_e32 v6, 0xffff, v9
	v_or_b32_e32 v10, 0x10000, v9
	s_delay_alu instid0(VALU_DEP_2) | instskip(NEXT) | instid1(VALU_DEP_1)
	v_cmp_eq_u32_e64 s2, 0, v6
	v_cndmask_b32_e64 v6, v10, v9, s2
; %bb.14:
	s_or_b32 exec_lo, exec_lo, s3
	v_mul_f32_e32 v9, s8, v7
	s_delay_alu instid0(VALU_DEP_1) | instskip(NEXT) | instid1(VALU_DEP_1)
	v_and_b32_e32 v7, 0x7f800000, v9
	v_cmp_ne_u32_e64 s2, 0x7f800000, v7
                                        ; implicit-def: $vgpr7
	s_delay_alu instid0(VALU_DEP_1) | instskip(NEXT) | instid1(SALU_CYCLE_1)
	s_and_saveexec_b32 s3, s2
	s_xor_b32 s2, exec_lo, s3
; %bb.15:
	v_bfe_u32 v7, v9, 16, 1
	s_delay_alu instid0(VALU_DEP_1)
	v_add3_u32 v7, v9, v7, 0x7fff
                                        ; implicit-def: $vgpr9
; %bb.16:
	s_and_not1_saveexec_b32 s3, s2
; %bb.17:
	v_and_b32_e32 v7, 0xffff, v9
	v_or_b32_e32 v10, 0x10000, v9
	s_delay_alu instid0(VALU_DEP_2) | instskip(NEXT) | instid1(VALU_DEP_1)
	v_cmp_eq_u32_e64 s2, 0, v7
	v_cndmask_b32_e64 v7, v10, v9, s2
; %bb.18:
	s_or_b32 exec_lo, exec_lo, s3
	s_waitcnt lgkmcnt(0)
	v_mul_f32_e32 v9, s8, v0
	s_delay_alu instid0(VALU_DEP_1) | instskip(NEXT) | instid1(VALU_DEP_1)
	v_and_b32_e32 v0, 0x7f800000, v9
	v_cmp_ne_u32_e64 s2, 0x7f800000, v0
                                        ; implicit-def: $vgpr0
	s_delay_alu instid0(VALU_DEP_1) | instskip(NEXT) | instid1(SALU_CYCLE_1)
	s_and_saveexec_b32 s3, s2
	s_xor_b32 s2, exec_lo, s3
; %bb.19:
	v_bfe_u32 v0, v9, 16, 1
	s_delay_alu instid0(VALU_DEP_1)
	v_add3_u32 v0, v9, v0, 0x7fff
                                        ; implicit-def: $vgpr9
; %bb.20:
	s_and_not1_saveexec_b32 s3, s2
; %bb.21:
	v_and_b32_e32 v0, 0xffff, v9
	v_or_b32_e32 v10, 0x10000, v9
	s_delay_alu instid0(VALU_DEP_2) | instskip(NEXT) | instid1(VALU_DEP_1)
	v_cmp_eq_u32_e64 s2, 0, v0
	v_cndmask_b32_e64 v0, v10, v9, s2
; %bb.22:
	s_or_b32 exec_lo, exec_lo, s3
	v_mul_f32_e32 v9, s8, v1
	s_delay_alu instid0(VALU_DEP_1) | instskip(NEXT) | instid1(VALU_DEP_1)
	v_and_b32_e32 v1, 0x7f800000, v9
	v_cmp_ne_u32_e64 s2, 0x7f800000, v1
                                        ; implicit-def: $vgpr1
	s_delay_alu instid0(VALU_DEP_1) | instskip(NEXT) | instid1(SALU_CYCLE_1)
	s_and_saveexec_b32 s3, s2
	s_xor_b32 s2, exec_lo, s3
; %bb.23:
	v_bfe_u32 v1, v9, 16, 1
	s_delay_alu instid0(VALU_DEP_1)
	v_add3_u32 v1, v9, v1, 0x7fff
                                        ; implicit-def: $vgpr9
; %bb.24:
	s_and_not1_saveexec_b32 s3, s2
; %bb.25:
	v_and_b32_e32 v1, 0xffff, v9
	v_or_b32_e32 v10, 0x10000, v9
	s_delay_alu instid0(VALU_DEP_2) | instskip(NEXT) | instid1(VALU_DEP_1)
	v_cmp_eq_u32_e64 s2, 0, v1
	v_cndmask_b32_e64 v1, v10, v9, s2
; %bb.26:
	s_or_b32 exec_lo, exec_lo, s3
	v_mul_f32_e32 v9, s8, v2
	s_delay_alu instid0(VALU_DEP_1) | instskip(NEXT) | instid1(VALU_DEP_1)
	v_and_b32_e32 v2, 0x7f800000, v9
	v_cmp_ne_u32_e64 s2, 0x7f800000, v2
                                        ; implicit-def: $vgpr2
	s_delay_alu instid0(VALU_DEP_1) | instskip(NEXT) | instid1(SALU_CYCLE_1)
	s_and_saveexec_b32 s3, s2
	s_xor_b32 s2, exec_lo, s3
; %bb.27:
	v_bfe_u32 v2, v9, 16, 1
	s_delay_alu instid0(VALU_DEP_1)
	v_add3_u32 v2, v9, v2, 0x7fff
                                        ; implicit-def: $vgpr9
; %bb.28:
	s_and_not1_saveexec_b32 s3, s2
; %bb.29:
	v_and_b32_e32 v2, 0xffff, v9
	v_or_b32_e32 v10, 0x10000, v9
	s_delay_alu instid0(VALU_DEP_2) | instskip(NEXT) | instid1(VALU_DEP_1)
	v_cmp_eq_u32_e64 s2, 0, v2
	v_cndmask_b32_e64 v2, v10, v9, s2
; %bb.30:
	s_or_b32 exec_lo, exec_lo, s3
	v_mul_f32_e32 v9, s8, v3
	s_delay_alu instid0(VALU_DEP_1) | instskip(NEXT) | instid1(VALU_DEP_1)
	v_and_b32_e32 v3, 0x7f800000, v9
	v_cmp_ne_u32_e64 s2, 0x7f800000, v3
                                        ; implicit-def: $vgpr3
	s_delay_alu instid0(VALU_DEP_1) | instskip(NEXT) | instid1(SALU_CYCLE_1)
	s_and_saveexec_b32 s3, s2
	s_xor_b32 s2, exec_lo, s3
	s_cbranch_execnz .LBB34_34
; %bb.31:
	s_and_not1_saveexec_b32 s3, s2
	s_cbranch_execnz .LBB34_35
.LBB34_32:
	s_or_b32 exec_lo, exec_lo, s3
	s_and_saveexec_b32 s2, vcc_lo
	s_cbranch_execnz .LBB34_36
.LBB34_33:
	s_endpgm
.LBB34_34:
	v_bfe_u32 v3, v9, 16, 1
	s_delay_alu instid0(VALU_DEP_1)
	v_add3_u32 v3, v9, v3, 0x7fff
                                        ; implicit-def: $vgpr9
	s_and_not1_saveexec_b32 s3, s2
	s_cbranch_execz .LBB34_32
.LBB34_35:
	v_and_b32_e32 v3, 0xffff, v9
	v_or_b32_e32 v10, 0x10000, v9
	s_delay_alu instid0(VALU_DEP_2) | instskip(NEXT) | instid1(VALU_DEP_1)
	v_cmp_eq_u32_e64 s2, 0, v3
	v_cndmask_b32_e64 v3, v10, v9, s2
	s_or_b32 exec_lo, exec_lo, s3
	s_and_saveexec_b32 s2, vcc_lo
	s_cbranch_execz .LBB34_33
.LBB34_36:
	s_clause 0x1
	s_load_b64 s[2:3], s[0:1], 0x18
	s_load_b64 s[0:1], s[0:1], 0x30
	v_perm_b32 v3, v3, v2, 0x7060302
	v_perm_b32 v2, v1, v0, 0x7060302
	;; [unrolled: 1-line block ×4, first 2 shown]
	s_waitcnt lgkmcnt(0)
	s_mul_i32 s4, s2, s7
	s_mul_hi_u32 s5, s2, s15
	s_mul_i32 s3, s3, s15
	s_add_i32 s4, s5, s4
	s_mul_i32 s2, s2, s15
	s_add_i32 s3, s4, s3
	s_delay_alu instid0(SALU_CYCLE_1) | instskip(NEXT) | instid1(SALU_CYCLE_1)
	s_lshl_b64 s[2:3], s[2:3], 1
	s_add_u32 s0, s0, s2
	s_addc_u32 s1, s1, s3
	global_store_b128 v8, v[0:3], s[0:1]
	s_nop 0
	s_sendmsg sendmsg(MSG_DEALLOC_VGPRS)
	s_endpgm
	.section	.rodata,"a",@progbits
	.p2align	6, 0x0
	.amdhsa_kernel _Z30fast_hadamard_transform_kernelI37fast_hadamard_transform_kernel_traitsILi256ELi11E14__hip_bfloat16EEv18HadamardParamsBase
		.amdhsa_group_segment_fixed_size 0
		.amdhsa_private_segment_fixed_size 0
		.amdhsa_kernarg_size 56
		.amdhsa_user_sgpr_count 15
		.amdhsa_user_sgpr_dispatch_ptr 0
		.amdhsa_user_sgpr_queue_ptr 0
		.amdhsa_user_sgpr_kernarg_segment_ptr 1
		.amdhsa_user_sgpr_dispatch_id 0
		.amdhsa_user_sgpr_private_segment_size 0
		.amdhsa_wavefront_size32 1
		.amdhsa_uses_dynamic_stack 0
		.amdhsa_enable_private_segment 0
		.amdhsa_system_sgpr_workgroup_id_x 1
		.amdhsa_system_sgpr_workgroup_id_y 0
		.amdhsa_system_sgpr_workgroup_id_z 0
		.amdhsa_system_sgpr_workgroup_info 0
		.amdhsa_system_vgpr_workitem_id 0
		.amdhsa_next_free_vgpr 24
		.amdhsa_next_free_sgpr 16
		.amdhsa_reserve_vcc 1
		.amdhsa_float_round_mode_32 0
		.amdhsa_float_round_mode_16_64 0
		.amdhsa_float_denorm_mode_32 3
		.amdhsa_float_denorm_mode_16_64 3
		.amdhsa_dx10_clamp 1
		.amdhsa_ieee_mode 1
		.amdhsa_fp16_overflow 0
		.amdhsa_workgroup_processor_mode 1
		.amdhsa_memory_ordered 1
		.amdhsa_forward_progress 0
		.amdhsa_shared_vgpr_count 0
		.amdhsa_exception_fp_ieee_invalid_op 0
		.amdhsa_exception_fp_denorm_src 0
		.amdhsa_exception_fp_ieee_div_zero 0
		.amdhsa_exception_fp_ieee_overflow 0
		.amdhsa_exception_fp_ieee_underflow 0
		.amdhsa_exception_fp_ieee_inexact 0
		.amdhsa_exception_int_div_zero 0
	.end_amdhsa_kernel
	.section	.text._Z30fast_hadamard_transform_kernelI37fast_hadamard_transform_kernel_traitsILi256ELi11E14__hip_bfloat16EEv18HadamardParamsBase,"axG",@progbits,_Z30fast_hadamard_transform_kernelI37fast_hadamard_transform_kernel_traitsILi256ELi11E14__hip_bfloat16EEv18HadamardParamsBase,comdat
.Lfunc_end34:
	.size	_Z30fast_hadamard_transform_kernelI37fast_hadamard_transform_kernel_traitsILi256ELi11E14__hip_bfloat16EEv18HadamardParamsBase, .Lfunc_end34-_Z30fast_hadamard_transform_kernelI37fast_hadamard_transform_kernel_traitsILi256ELi11E14__hip_bfloat16EEv18HadamardParamsBase
                                        ; -- End function
	.section	.AMDGPU.csdata,"",@progbits
; Kernel info:
; codeLenInByte = 3212
; NumSgprs: 18
; NumVgprs: 24
; ScratchSize: 0
; MemoryBound: 0
; FloatMode: 240
; IeeeMode: 1
; LDSByteSize: 0 bytes/workgroup (compile time only)
; SGPRBlocks: 2
; VGPRBlocks: 2
; NumSGPRsForWavesPerEU: 18
; NumVGPRsForWavesPerEU: 24
; Occupancy: 16
; WaveLimiterHint : 0
; COMPUTE_PGM_RSRC2:SCRATCH_EN: 0
; COMPUTE_PGM_RSRC2:USER_SGPR: 15
; COMPUTE_PGM_RSRC2:TRAP_HANDLER: 0
; COMPUTE_PGM_RSRC2:TGID_X_EN: 1
; COMPUTE_PGM_RSRC2:TGID_Y_EN: 0
; COMPUTE_PGM_RSRC2:TGID_Z_EN: 0
; COMPUTE_PGM_RSRC2:TIDIG_COMP_CNT: 0
	.section	.text._Z30fast_hadamard_transform_kernelI37fast_hadamard_transform_kernel_traitsILi256ELi12E14__hip_bfloat16EEv18HadamardParamsBase,"axG",@progbits,_Z30fast_hadamard_transform_kernelI37fast_hadamard_transform_kernel_traitsILi256ELi12E14__hip_bfloat16EEv18HadamardParamsBase,comdat
	.protected	_Z30fast_hadamard_transform_kernelI37fast_hadamard_transform_kernel_traitsILi256ELi12E14__hip_bfloat16EEv18HadamardParamsBase ; -- Begin function _Z30fast_hadamard_transform_kernelI37fast_hadamard_transform_kernel_traitsILi256ELi12E14__hip_bfloat16EEv18HadamardParamsBase
	.globl	_Z30fast_hadamard_transform_kernelI37fast_hadamard_transform_kernel_traitsILi256ELi12E14__hip_bfloat16EEv18HadamardParamsBase
	.p2align	8
	.type	_Z30fast_hadamard_transform_kernelI37fast_hadamard_transform_kernel_traitsILi256ELi12E14__hip_bfloat16EEv18HadamardParamsBase,@function
_Z30fast_hadamard_transform_kernelI37fast_hadamard_transform_kernel_traitsILi256ELi12E14__hip_bfloat16EEv18HadamardParamsBase: ; @_Z30fast_hadamard_transform_kernelI37fast_hadamard_transform_kernel_traitsILi256ELi12E14__hip_bfloat16EEv18HadamardParamsBase
; %bb.0:
	s_clause 0x3
	s_load_b128 s[4:7], s[0:1], 0x10
	s_load_b32 s13, s[0:1], 0x4
	s_load_b128 s[8:11], s[0:1], 0x28
	s_load_b32 s14, s[0:1], 0x44
	s_ashr_i32 s12, s15, 31
	v_lshlrev_b32_e32 v9, 3, v0
	v_dual_mov_b32 v1, 0 :: v_dual_mov_b32 v2, 0
	v_dual_mov_b32 v3, 0 :: v_dual_mov_b32 v4, 0
	;; [unrolled: 1-line block ×4, first 2 shown]
	v_lshlrev_b32_e32 v16, 4, v0
	s_waitcnt lgkmcnt(0)
	s_mul_hi_u32 s2, s4, s15
	s_mul_i32 s3, s4, s12
	s_mul_i32 s5, s5, s15
	s_add_i32 s3, s2, s3
	s_mul_i32 s2, s4, s15
	s_add_i32 s3, s3, s5
	v_cmp_gt_u32_e32 vcc_lo, s13, v9
	v_mov_b32_e32 v9, 0
	s_lshl_b64 s[2:3], s[2:3], 1
	s_delay_alu instid0(SALU_CYCLE_1)
	s_add_u32 s2, s8, s2
	s_addc_u32 s3, s9, s3
	s_and_saveexec_b32 s4, vcc_lo
	s_cbranch_execz .LBB35_2
; %bb.1:
	global_load_b128 v[10:13], v16, s[2:3]
	s_waitcnt vmcnt(0)
	v_and_b32_e32 v9, 0xffff0000, v10
	v_lshlrev_b32_e32 v8, 16, v10
	v_and_b32_e32 v7, 0xffff0000, v11
	v_lshlrev_b32_e32 v6, 16, v11
	v_and_b32_e32 v5, 0xffff0000, v12
	v_lshlrev_b32_e32 v4, 16, v12
	v_and_b32_e32 v3, 0xffff0000, v13
	v_lshlrev_b32_e32 v2, 16, v13
.LBB35_2:
	s_or_b32 exec_lo, exec_lo, s4
	s_load_b32 s8, s[0:1], 0x20
	s_and_b32 s4, 0xffff, s14
	s_delay_alu instid0(SALU_CYCLE_1) | instskip(SKIP_2) | instid1(VALU_DEP_3)
	v_dual_mov_b32 v10, 0 :: v_dual_add_nc_u32 v13, s4, v0
	v_dual_mov_b32 v12, 0 :: v_dual_mov_b32 v15, 0
	v_dual_mov_b32 v18, 0 :: v_dual_mov_b32 v11, 0
	v_lshlrev_b32_e32 v14, 3, v13
	v_lshlrev_b32_e32 v17, 4, v13
	v_mov_b32_e32 v13, 0
	s_delay_alu instid0(VALU_DEP_3) | instskip(SKIP_1) | instid1(VALU_DEP_2)
	v_cmp_gt_u32_e64 s0, s13, v14
	v_mov_b32_e32 v14, 0
	s_and_saveexec_b32 s1, s0
	s_cbranch_execz .LBB35_4
; %bb.3:
	global_load_b128 v[19:22], v17, s[2:3]
	s_waitcnt vmcnt(0)
	v_and_b32_e32 v18, 0xffff0000, v19
	v_lshlrev_b32_e32 v15, 16, v19
	v_and_b32_e32 v14, 0xffff0000, v20
	v_lshlrev_b32_e32 v13, 16, v20
	;; [unrolled: 2-line block ×4, first 2 shown]
.LBB35_4:
	s_or_b32 exec_lo, exec_lo, s1
	v_mbcnt_lo_u32_b32 v20, -1, 0
	v_add_f32_e32 v19, v8, v9
	v_dual_sub_f32 v8, v8, v9 :: v_dual_add_f32 v9, v15, v18
	v_sub_f32_e32 v15, v15, v18
	s_delay_alu instid0(VALU_DEP_4)
	v_xor_b32_e32 v21, 1, v20
	v_add_f32_e32 v18, v6, v7
	v_dual_sub_f32 v6, v6, v7 :: v_dual_add_f32 v7, v13, v14
	v_dual_sub_f32 v13, v13, v14 :: v_dual_add_f32 v14, v4, v5
	;; [unrolled: 1-line block ×5, first 2 shown]
	v_sub_f32_e32 v1, v1, v10
	v_cmp_gt_i32_e64 s1, 32, v21
	v_add_f32_e32 v10, v19, v18
	v_dual_sub_f32 v18, v19, v18 :: v_dual_add_f32 v19, v9, v7
	v_sub_f32_e32 v7, v9, v7
	v_add_f32_e32 v9, v8, v6
	v_sub_f32_e32 v6, v8, v6
	v_add_f32_e32 v8, v15, v13
	;; [unrolled: 2-line block ×6, first 2 shown]
	v_add_f32_e32 v4, v11, v1
	v_dual_sub_f32 v11, v11, v1 :: v_dual_sub_f32 v10, v10, v15
	v_cndmask_b32_e64 v1, v20, v21, s1
	v_add_f32_e32 v15, v19, v14
	v_dual_sub_f32 v14, v19, v14 :: v_dual_add_f32 v19, v9, v5
	v_sub_f32_e32 v5, v9, v5
	s_delay_alu instid0(VALU_DEP_4)
	v_lshlrev_b32_e32 v1, 2, v1
	v_add_f32_e32 v9, v18, v12
	v_dual_add_f32 v21, v8, v4 :: v_dual_add_f32 v26, v6, v2
	v_sub_f32_e32 v4, v8, v4
	v_sub_f32_e32 v12, v18, v12
	ds_bpermute_b32 v8, v1, v22
	ds_bpermute_b32 v23, v1, v19
	v_dual_add_f32 v25, v7, v3 :: v_dual_and_b32 v18, 1, v0
	v_sub_f32_e32 v2, v6, v2
	ds_bpermute_b32 v27, v1, v12
	s_waitcnt lgkmcnt(0)
	v_cmp_eq_u32_e64 s1, 0, v18
	ds_bpermute_b32 v18, v1, v10
	ds_bpermute_b32 v28, v1, v2
	s_waitcnt lgkmcnt(0)
	s_barrier
	buffer_gl0_inv
	v_cndmask_b32_e64 v6, -v22, v22, s1
	v_cndmask_b32_e64 v19, -v19, v19, s1
	v_sub_f32_e32 v3, v7, v3
	ds_bpermute_b32 v7, v1, v26
	v_cndmask_b32_e64 v10, -v10, v10, s1
	v_add_f32_e32 v29, v13, v11
	v_cndmask_b32_e64 v12, -v12, v12, s1
	v_cndmask_b32_e64 v2, -v2, v2, s1
	v_add_f32_e32 v6, v6, v8
	v_add_f32_e32 v8, v19, v23
	ds_bpermute_b32 v24, v1, v9
	v_cndmask_b32_e64 v9, -v9, v9, s1
	ds_bpermute_b32 v23, v1, v21
	ds_bpermute_b32 v19, v1, v15
	;; [unrolled: 1-line block ×3, first 2 shown]
	v_cndmask_b32_e64 v21, -v21, v21, s1
	v_add_f32_e32 v10, v10, v18
	v_xor_b32_e32 v18, 2, v20
	v_cndmask_b32_e64 v5, -v5, v5, s1
	v_add_f32_e32 v12, v12, v27
	s_delay_alu instid0(VALU_DEP_3) | instskip(NEXT) | instid1(VALU_DEP_1)
	v_cmp_gt_i32_e64 s2, 32, v18
	v_cndmask_b32_e64 v18, v20, v18, s2
	v_sub_f32_e32 v11, v13, v11
	v_cndmask_b32_e64 v13, -v26, v26, s1
	s_waitcnt lgkmcnt(3)
	v_add_f32_e32 v9, v9, v24
	ds_bpermute_b32 v24, v1, v25
	ds_bpermute_b32 v26, v1, v4
	v_cndmask_b32_e64 v4, -v4, v4, s1
	v_add_f32_e32 v7, v13, v7
	v_add_f32_e32 v13, v2, v28
	v_cndmask_b32_e64 v2, -v15, v15, s1
	ds_bpermute_b32 v15, v1, v29
	v_cndmask_b32_e64 v25, -v25, v25, s1
	s_waitcnt lgkmcnt(5)
	v_add_f32_e32 v21, v21, v23
	s_waitcnt lgkmcnt(4)
	v_dual_add_f32 v19, v2, v19 :: v_dual_lshlrev_b32 v2, 2, v18
	ds_bpermute_b32 v18, v1, v3
	v_cndmask_b32_e64 v3, -v3, v3, s1
	ds_bpermute_b32 v27, v2, v6
	ds_bpermute_b32 v28, v2, v8
	;; [unrolled: 1-line block ×3, first 2 shown]
	s_waitcnt lgkmcnt(6)
	v_add_f32_e32 v23, v25, v24
	v_cndmask_b32_e64 v24, -v29, v29, s1
	ds_bpermute_b32 v25, v1, v11
	s_waitcnt lgkmcnt(6)
	v_add_f32_e32 v4, v4, v26
	ds_bpermute_b32 v29, v2, v9
	v_cndmask_b32_e64 v11, -v11, v11, s1
	s_waitcnt lgkmcnt(6)
	v_dual_add_f32 v15, v24, v15 :: v_dual_and_b32 v24, 2, v0
	ds_bpermute_b32 v31, v2, v13
	v_cmp_eq_u32_e64 s2, 0, v24
	ds_bpermute_b32 v24, v2, v10
	s_waitcnt lgkmcnt(7)
	v_add_f32_e32 v18, v3, v18
	v_cndmask_b32_e64 v6, -v6, v6, s2
	v_add_f32_e32 v5, v5, v22
	ds_bpermute_b32 v22, v1, v14
	v_cndmask_b32_e64 v14, -v14, v14, s1
	v_cndmask_b32_e64 v3, -v7, v7, s2
	s_waitcnt lgkmcnt(7)
	v_add_f32_e32 v6, v6, v27
	ds_bpermute_b32 v26, v2, v5
	v_cndmask_b32_e64 v8, -v8, v8, s2
	v_cndmask_b32_e64 v5, -v5, v5, s2
	s_waitcnt lgkmcnt(5)
	v_add_f32_e32 v11, v11, v25
	v_cndmask_b32_e64 v9, -v9, v9, s2
	v_cndmask_b32_e64 v12, -v12, v12, s2
	v_add_f32_e32 v8, v8, v28
	ds_bpermute_b32 v28, v2, v4
	v_cndmask_b32_e64 v4, -v4, v4, s2
	s_waitcnt lgkmcnt(5)
	v_dual_add_f32 v9, v9, v29 :: v_dual_add_f32 v12, v12, v30
	v_cndmask_b32_e64 v13, -v13, v13, s2
	s_waitcnt lgkmcnt(2)
	v_add_f32_e32 v14, v14, v22
	ds_bpermute_b32 v22, v2, v7
	v_cndmask_b32_e64 v7, -v10, v10, s2
	ds_bpermute_b32 v10, v2, v19
	s_waitcnt lgkmcnt(3)
	v_add_f32_e32 v5, v5, v26
	ds_bpermute_b32 v26, v2, v14
	v_cndmask_b32_e64 v14, -v14, v14, s2
	v_add_f32_e32 v7, v7, v24
	v_xor_b32_e32 v24, 4, v20
	ds_bpermute_b32 v25, v2, v21
	v_cndmask_b32_e64 v21, -v21, v21, s2
	s_waitcnt lgkmcnt(4)
	v_add_f32_e32 v4, v4, v28
	v_cmp_gt_i32_e64 s3, 32, v24
	s_delay_alu instid0(VALU_DEP_1)
	v_cndmask_b32_e64 v24, v20, v24, s3
	s_waitcnt lgkmcnt(3)
	v_add_f32_e32 v22, v3, v22
	v_cndmask_b32_e64 v3, -v19, v19, s2
	ds_bpermute_b32 v27, v2, v23
	v_cndmask_b32_e64 v23, -v23, v23, s2
	s_waitcnt lgkmcnt(2)
	v_add_f32_e32 v14, v14, v26
	v_add_f32_e32 v10, v3, v10
	ds_bpermute_b32 v19, v2, v15
	v_lshlrev_b32_e32 v3, 2, v24
	v_cndmask_b32_e64 v15, -v15, v15, s2
	ds_bpermute_b32 v24, v2, v18
	v_cndmask_b32_e64 v18, -v18, v18, s2
	v_add_f32_e32 v13, v13, v31
	ds_bpermute_b32 v31, v3, v12
	s_waitcnt lgkmcnt(2)
	v_add_f32_e32 v15, v15, v19
	v_and_b32_e32 v19, 4, v0
	s_waitcnt lgkmcnt(1)
	v_add_f32_e32 v18, v18, v24
	s_delay_alu instid0(VALU_DEP_2) | instskip(NEXT) | instid1(VALU_DEP_1)
	v_cmp_eq_u32_e64 s3, 0, v19
	v_cndmask_b32_e64 v12, -v12, v12, s3
	s_waitcnt lgkmcnt(0)
	s_delay_alu instid0(VALU_DEP_1)
	v_add_f32_e32 v12, v12, v31
	ds_bpermute_b32 v28, v3, v5
	ds_bpermute_b32 v29, v3, v8
	v_cndmask_b32_e64 v8, -v8, v8, s3
	v_add_f32_e32 v23, v23, v27
	ds_bpermute_b32 v27, v3, v6
	v_cndmask_b32_e64 v6, -v6, v6, s3
	v_add_f32_e32 v21, v21, v25
	ds_bpermute_b32 v25, v2, v11
	v_cndmask_b32_e64 v5, -v5, v5, s3
	v_cndmask_b32_e64 v11, -v11, v11, s2
	ds_bpermute_b32 v24, v3, v10
	ds_bpermute_b32 v26, v3, v7
	v_cndmask_b32_e64 v10, -v10, v10, s3
	ds_bpermute_b32 v30, v3, v9
	v_cndmask_b32_e64 v7, -v7, v7, s3
	;; [unrolled: 2-line block ×3, first 2 shown]
	v_cndmask_b32_e64 v22, -v22, v22, s3
	ds_bpermute_b32 v32, v3, v13
	v_cndmask_b32_e64 v13, -v13, v13, s3
	s_waitcnt lgkmcnt(8)
	v_add_f32_e32 v5, v5, v28
	v_xor_b32_e32 v28, 8, v20
	s_waitcnt lgkmcnt(7)
	v_add_f32_e32 v8, v8, v29
	ds_bpermute_b32 v29, v3, v4
	s_waitcnt lgkmcnt(7)
	v_add_f32_e32 v6, v6, v27
	v_cndmask_b32_e64 v4, -v4, v4, s3
	v_cmp_gt_i32_e64 s4, 32, v28
	ds_bpermute_b32 v27, v3, v23
	v_cndmask_b32_e64 v23, -v23, v23, s3
	s_waitcnt lgkmcnt(6)
	v_add_f32_e32 v10, v10, v24
	v_cndmask_b32_e64 v28, v20, v28, s4
	v_add_f32_e32 v11, v11, v25
	ds_bpermute_b32 v25, v3, v21
	v_cndmask_b32_e64 v21, -v21, v21, s3
	s_waitcnt lgkmcnt(5)
	v_dual_add_f32 v9, v9, v30 :: v_dual_lshlrev_b32 v24, 2, v28
	s_waitcnt lgkmcnt(4)
	v_add_f32_e32 v19, v22, v19
	ds_bpermute_b32 v22, v3, v15
	v_cndmask_b32_e64 v15, -v15, v15, s3
	ds_bpermute_b32 v28, v24, v6
	ds_bpermute_b32 v30, v24, v8
	s_waitcnt lgkmcnt(5)
	v_add_f32_e32 v4, v4, v29
	s_waitcnt lgkmcnt(3)
	v_add_f32_e32 v21, v21, v25
	ds_bpermute_b32 v25, v3, v18
	v_cndmask_b32_e64 v18, -v18, v18, s3
	v_add_f32_e32 v7, v7, v26
	ds_bpermute_b32 v26, v3, v14
	v_cndmask_b32_e64 v14, -v14, v14, s3
	s_waitcnt lgkmcnt(1)
	v_add_f32_e32 v18, v18, v25
	ds_bpermute_b32 v25, v24, v10
	ds_bpermute_b32 v31, v24, v7
	s_waitcnt lgkmcnt(2)
	v_add_f32_e32 v14, v14, v26
	v_and_b32_e32 v26, 8, v0
	ds_bpermute_b32 v29, v24, v19
	v_cmp_eq_u32_e64 s4, 0, v26
	s_delay_alu instid0(VALU_DEP_1) | instskip(SKIP_3) | instid1(VALU_DEP_4)
	v_cndmask_b32_e64 v8, -v8, v8, s4
	v_cndmask_b32_e64 v6, -v6, v6, s4
	;; [unrolled: 1-line block ×4, first 2 shown]
	v_add_f32_e32 v8, v8, v30
	ds_bpermute_b32 v26, v24, v5
	v_add_f32_e32 v6, v6, v28
	v_cndmask_b32_e64 v5, -v5, v5, s4
	v_xor_b32_e32 v28, 16, v20
	v_add_f32_e32 v23, v23, v27
	ds_bpermute_b32 v27, v3, v11
	v_cndmask_b32_e64 v11, -v11, v11, s3
	ds_bpermute_b32 v30, v24, v4
	v_cmp_gt_i32_e64 s5, 32, v28
	v_cndmask_b32_e64 v4, -v4, v4, s4
	s_waitcnt lgkmcnt(3)
	v_add_f32_e32 v19, v19, v29
	ds_bpermute_b32 v29, v24, v14
	v_cndmask_b32_e64 v14, -v14, v14, s4
	s_waitcnt lgkmcnt(3)
	v_dual_add_f32 v7, v7, v31 :: v_dual_add_f32 v26, v5, v26
	v_cndmask_b32_e64 v5, -v10, v10, s4
	ds_bpermute_b32 v10, v24, v23
	v_add_f32_e32 v25, v5, v25
	v_cndmask_b32_e64 v5, v20, v28, s5
	v_add_f32_e32 v13, v13, v32
	ds_bpermute_b32 v32, v24, v12
	v_cndmask_b32_e64 v12, -v12, v12, s4
	v_add_f32_e32 v15, v15, v22
	ds_bpermute_b32 v22, v24, v9
	v_cndmask_b32_e64 v9, -v9, v9, s4
	s_waitcnt lgkmcnt(3)
	v_add_f32_e32 v14, v14, v29
	s_waitcnt lgkmcnt(0)
	s_delay_alu instid0(VALU_DEP_2)
	v_dual_add_f32 v12, v12, v32 :: v_dual_add_f32 v9, v9, v22
	ds_bpermute_b32 v22, v24, v21
	v_cndmask_b32_e64 v21, -v21, v21, s4
	v_add_f32_e32 v11, v11, v27
	ds_bpermute_b32 v27, v24, v15
	v_cndmask_b32_e64 v15, -v15, v15, s4
	s_waitcnt lgkmcnt(1)
	v_add_f32_e32 v20, v21, v22
	v_cndmask_b32_e64 v21, -v23, v23, s4
	v_lshlrev_b32_e32 v22, 2, v5
	ds_bpermute_b32 v33, v24, v13
	ds_bpermute_b32 v5, v24, v18
	;; [unrolled: 1-line block ×3, first 2 shown]
	v_and_b32_e32 v24, 16, v0
	ds_bpermute_b32 v28, v22, v6
	ds_bpermute_b32 v31, v22, v8
	;; [unrolled: 1-line block ×4, first 2 shown]
	v_cmp_eq_u32_e64 s5, 0, v24
	v_add_f32_e32 v24, v4, v30
	v_cndmask_b32_e64 v4, -v18, v18, s4
	ds_bpermute_b32 v18, v22, v7
	v_cndmask_b32_e64 v13, -v13, v13, s4
	v_cndmask_b32_e64 v9, -v9, v9, s5
	s_waitcnt lgkmcnt(8)
	v_add_f32_e32 v15, v15, v27
	ds_bpermute_b32 v27, v22, v26
	v_cndmask_b32_e64 v12, -v12, v12, s5
	v_add_f32_e32 v21, v21, v10
	v_cndmask_b32_e64 v10, -v11, v11, s4
	ds_bpermute_b32 v11, v22, v19
	v_cndmask_b32_e64 v6, -v6, v6, s5
	s_waitcnt lgkmcnt(9)
	v_add_f32_e32 v13, v13, v33
	v_cndmask_b32_e64 v8, -v8, v8, s5
	s_waitcnt lgkmcnt(6)
	v_dual_add_f32 v33, v4, v5 :: v_dual_add_f32 v4, v6, v28
	ds_bpermute_b32 v30, v22, v13
	s_waitcnt lgkmcnt(5)
	v_dual_add_f32 v5, v8, v31 :: v_dual_add_f32 v6, v9, v32
	v_cndmask_b32_e64 v8, -v19, v19, s5
	v_cndmask_b32_e64 v9, -v7, v7, s5
	ds_bpermute_b32 v32, v22, v14
	v_add_f32_e32 v23, v10, v23
	v_cndmask_b32_e64 v10, -v26, v26, s5
	ds_bpermute_b32 v19, v22, v25
	v_cndmask_b32_e64 v13, -v13, v13, s5
	ds_bpermute_b32 v26, v22, v20
	ds_bpermute_b32 v31, v22, v15
	v_cndmask_b32_e64 v15, -v15, v15, s5
	s_waitcnt lgkmcnt(5)
	v_dual_add_f32 v7, v8, v11 :: v_dual_add_f32 v8, v9, v18
	v_dual_add_f32 v9, v10, v27 :: v_dual_add_f32 v10, v12, v29
	ds_bpermute_b32 v28, v22, v21
	ds_bpermute_b32 v27, v22, v24
	v_cndmask_b32_e64 v12, -v25, v25, s5
	ds_bpermute_b32 v25, v22, v33
	s_waitcnt lgkmcnt(7)
	v_add_f32_e32 v11, v13, v30
	v_cndmask_b32_e64 v13, -v20, v20, s5
	v_cndmask_b32_e64 v18, -v21, v21, s5
	;; [unrolled: 1-line block ×3, first 2 shown]
	v_lshrrev_b32_e32 v21, 3, v0
	s_waitcnt lgkmcnt(5)
	v_add_f32_e32 v12, v12, v19
	v_cndmask_b32_e64 v19, -v24, v24, s5
	s_waitcnt lgkmcnt(4)
	v_dual_add_f32 v13, v13, v26 :: v_dual_and_b32 v24, 7, v0
	v_cndmask_b32_e64 v26, -v33, v33, s5
	s_waitcnt lgkmcnt(2)
	v_dual_add_f32 v15, v15, v31 :: v_dual_add_f32 v14, v18, v28
	v_add_f32_e32 v18, v20, v32
	ds_bpermute_b32 v22, v22, v23
	v_lshrrev_b32_e32 v20, 5, v0
	v_cndmask_b32_e64 v23, -v23, v23, s5
	s_waitcnt lgkmcnt(2)
	v_add_f32_e32 v19, v19, v27
	v_lshl_or_b32 v27, v24, 5, v21
	v_xor_b32_e32 v0, v20, v0
	s_waitcnt lgkmcnt(0)
	v_dual_add_f32 v20, v26, v25 :: v_dual_add_f32 v21, v23, v22
	s_delay_alu instid0(VALU_DEP_2)
	v_lshl_add_u32 v22, v0, 4, 0
	v_xor_b32_e32 v0, v27, v24
	ds_store_b128 v22, v[4:7]
	ds_store_b128 v22, v[8:11] offset:4096
	v_lshl_add_u32 v23, v0, 4, 0
	ds_store_b128 v22, v[12:15] offset:8192
	ds_store_b128 v22, v[18:21] offset:12288
	s_waitcnt lgkmcnt(0)
	s_barrier
	buffer_gl0_inv
	ds_load_b128 v[4:7], v23
	ds_load_b128 v[8:11], v23 offset:4096
	ds_load_b128 v[12:15], v23 offset:8192
	;; [unrolled: 1-line block ×3, first 2 shown]
	s_waitcnt lgkmcnt(0)
	s_barrier
	buffer_gl0_inv
	ds_bpermute_b32 v0, v1, v4
	ds_bpermute_b32 v24, v1, v5
	;; [unrolled: 1-line block ×3, first 2 shown]
	v_cndmask_b32_e64 v4, -v4, v4, s1
	v_cndmask_b32_e64 v5, -v5, v5, s1
	;; [unrolled: 1-line block ×3, first 2 shown]
	ds_bpermute_b32 v26, v1, v7
	ds_bpermute_b32 v27, v1, v8
	;; [unrolled: 1-line block ×7, first 2 shown]
	v_cndmask_b32_e64 v15, -v15, v15, s1
	v_cndmask_b32_e64 v18, -v18, v18, s1
	s_waitcnt lgkmcnt(9)
	v_add_f32_e32 v0, v4, v0
	s_waitcnt lgkmcnt(7)
	v_dual_add_f32 v4, v5, v24 :: v_dual_add_f32 v5, v6, v25
	v_cndmask_b32_e64 v6, -v7, v7, s1
	v_cndmask_b32_e64 v7, -v8, v8, s1
	;; [unrolled: 1-line block ×5, first 2 shown]
	ds_bpermute_b32 v11, v1, v12
	ds_bpermute_b32 v24, v1, v13
	;; [unrolled: 1-line block ×3, first 2 shown]
	v_cndmask_b32_e64 v12, -v12, v12, s1
	v_cndmask_b32_e64 v13, -v13, v13, s1
	;; [unrolled: 1-line block ×3, first 2 shown]
	s_waitcnt lgkmcnt(8)
	v_dual_add_f32 v6, v6, v26 :: v_dual_add_f32 v7, v7, v27
	s_waitcnt lgkmcnt(5)
	v_add_f32_e32 v10, v10, v30
	v_add_f32_e32 v8, v8, v28
	ds_bpermute_b32 v26, v1, v19
	ds_bpermute_b32 v27, v1, v20
	;; [unrolled: 1-line block ×4, first 2 shown]
	v_cndmask_b32_e64 v0, -v0, v0, s2
	ds_bpermute_b32 v30, v2, v8
	s_waitcnt lgkmcnt(6)
	v_dual_add_f32 v11, v12, v11 :: v_dual_add_f32 v12, v13, v24
	s_waitcnt lgkmcnt(5)
	v_dual_add_f32 v13, v14, v25 :: v_dual_add_f32 v14, v15, v31
	v_add_f32_e32 v15, v18, v32
	v_cndmask_b32_e64 v18, -v19, v19, s1
	v_add_f32_e32 v9, v9, v29
	ds_bpermute_b32 v29, v2, v4
	ds_bpermute_b32 v25, v2, v7
	v_cndmask_b32_e64 v19, -v20, v20, s1
	s_waitcnt lgkmcnt(6)
	v_add_f32_e32 v18, v18, v26
	v_cndmask_b32_e64 v20, -v21, v21, s1
	v_cndmask_b32_e64 v4, -v4, v4, s2
	ds_bpermute_b32 v21, v2, v5
	ds_bpermute_b32 v24, v2, v6
	;; [unrolled: 1-line block ×3, first 2 shown]
	s_waitcnt lgkmcnt(7)
	v_add_f32_e32 v1, v20, v1
	s_waitcnt lgkmcnt(6)
	v_add_f32_e32 v0, v0, v28
	ds_bpermute_b32 v28, v2, v13
	s_waitcnt lgkmcnt(5)
	v_add_f32_e32 v20, v4, v29
	v_cndmask_b32_e64 v4, -v5, v5, s2
	v_cndmask_b32_e64 v5, -v6, v6, s2
	v_cndmask_b32_e64 v6, -v7, v7, s2
	v_cndmask_b32_e64 v7, -v8, v8, s2
	v_cndmask_b32_e64 v8, -v9, v9, s2
	ds_bpermute_b32 v9, v2, v10
	s_waitcnt lgkmcnt(4)
	v_add_f32_e32 v21, v4, v21
	v_add_f32_e32 v6, v6, v25
	ds_bpermute_b32 v26, v2, v11
	v_cndmask_b32_e64 v4, -v10, v10, s2
	v_cndmask_b32_e64 v10, -v11, v11, s2
	v_add_f32_e32 v19, v19, v27
	ds_bpermute_b32 v27, v2, v12
	ds_bpermute_b32 v29, v2, v14
	s_waitcnt lgkmcnt(5)
	v_dual_add_f32 v5, v5, v24 :: v_dual_add_f32 v8, v8, v31
	v_cndmask_b32_e64 v11, -v12, v12, s2
	v_cndmask_b32_e64 v12, -v13, v13, s2
	;; [unrolled: 1-line block ×3, first 2 shown]
	ds_bpermute_b32 v14, v2, v15
	ds_bpermute_b32 v24, v2, v18
	s_waitcnt lgkmcnt(6)
	v_dual_add_f32 v7, v7, v30 :: v_dual_add_f32 v12, v12, v28
	ds_bpermute_b32 v30, v3, v0
	v_cndmask_b32_e64 v0, -v0, v0, s3
	s_waitcnt lgkmcnt(6)
	v_add_f32_e32 v9, v4, v9
	v_cndmask_b32_e64 v4, -v15, v15, s2
	v_cndmask_b32_e64 v15, -v18, v18, s2
	s_waitcnt lgkmcnt(5)
	v_add_f32_e32 v10, v10, v26
	ds_bpermute_b32 v25, v2, v19
	ds_bpermute_b32 v2, v2, v1
	v_cndmask_b32_e64 v1, -v1, v1, s2
	v_cndmask_b32_e64 v18, -v19, v19, s2
	s_waitcnt lgkmcnt(6)
	v_add_f32_e32 v11, v11, v27
	ds_bpermute_b32 v19, v3, v20
	ds_bpermute_b32 v27, v3, v5
	s_waitcnt lgkmcnt(7)
	v_add_f32_e32 v13, v13, v29
	ds_bpermute_b32 v28, v3, v6
	ds_bpermute_b32 v29, v3, v7
	s_waitcnt lgkmcnt(7)
	v_dual_add_f32 v14, v4, v14 :: v_dual_add_f32 v15, v15, v24
	ds_bpermute_b32 v31, v3, v10
	ds_bpermute_b32 v32, v3, v11
	s_waitcnt lgkmcnt(8)
	v_add_f32_e32 v4, v0, v30
	v_cndmask_b32_e64 v0, -v20, v20, s3
	v_cndmask_b32_e64 v20, -v6, v6, s3
	ds_bpermute_b32 v33, v3, v12
	s_waitcnt lgkmcnt(8)
	v_add_f32_e32 v18, v18, v25
	s_waitcnt lgkmcnt(7)
	v_add_f32_e32 v24, v1, v2
	ds_bpermute_b32 v26, v3, v21
	v_cndmask_b32_e64 v1, -v21, v21, s3
	v_cndmask_b32_e64 v2, -v5, v5, s3
	;; [unrolled: 1-line block ×3, first 2 shown]
	ds_bpermute_b32 v25, v3, v8
	s_waitcnt lgkmcnt(7)
	v_add_f32_e32 v7, v2, v27
	v_cndmask_b32_e64 v2, -v8, v8, s3
	v_add_f32_e32 v5, v0, v19
	ds_bpermute_b32 v19, v3, v13
	s_waitcnt lgkmcnt(7)
	v_add_f32_e32 v0, v20, v28
	ds_bpermute_b32 v20, v3, v14
	ds_bpermute_b32 v27, v3, v24
	v_cndmask_b32_e64 v8, -v10, v10, s3
	v_cndmask_b32_e64 v10, -v12, v12, s3
	;; [unrolled: 1-line block ×4, first 2 shown]
	s_waitcnt lgkmcnt(7)
	v_add_f32_e32 v8, v8, v31
	s_waitcnt lgkmcnt(4)
	v_add_f32_e32 v6, v1, v26
	ds_bpermute_b32 v30, v3, v9
	v_add_f32_e32 v1, v21, v29
	ds_bpermute_b32 v21, v3, v15
	ds_bpermute_b32 v26, v3, v18
	v_cndmask_b32_e64 v3, -v9, v9, s3
	v_cndmask_b32_e64 v9, -v11, v11, s3
	;; [unrolled: 1-line block ×5, first 2 shown]
	s_waitcnt lgkmcnt(6)
	v_dual_add_f32 v2, v2, v25 :: v_dual_add_f32 v9, v9, v32
	s_waitcnt lgkmcnt(5)
	v_dual_add_f32 v10, v10, v33 :: v_dual_add_f32 v11, v11, v19
	;; [unrolled: 2-line block ×3, first 2 shown]
	s_waitcnt lgkmcnt(2)
	v_add_f32_e32 v3, v3, v30
	s_waitcnt lgkmcnt(0)
	v_dual_add_f32 v13, v13, v21 :: v_dual_add_f32 v14, v14, v26
	ds_store_b128 v23, v[4:7]
	ds_store_b128 v23, v[0:3] offset:4096
	ds_store_b128 v23, v[8:11] offset:8192
	;; [unrolled: 1-line block ×3, first 2 shown]
	s_waitcnt lgkmcnt(0)
	s_barrier
	buffer_gl0_inv
	ds_load_b128 v[8:11], v22 offset:8192
	ds_load_b128 v[12:15], v22
	ds_load_b128 v[0:3], v22 offset:4096
	ds_load_b128 v[4:7], v22 offset:12288
	s_waitcnt lgkmcnt(2)
	v_add_f32_e32 v18, v12, v8
	s_delay_alu instid0(VALU_DEP_1) | instskip(NEXT) | instid1(VALU_DEP_1)
	v_mul_f32_e32 v19, s8, v18
	v_and_b32_e32 v18, 0x7f800000, v19
	s_delay_alu instid0(VALU_DEP_1) | instskip(NEXT) | instid1(VALU_DEP_1)
	v_cmp_ne_u32_e64 s1, 0x7f800000, v18
                                        ; implicit-def: $vgpr18
	s_and_saveexec_b32 s2, s1
	s_delay_alu instid0(SALU_CYCLE_1)
	s_xor_b32 s1, exec_lo, s2
; %bb.5:
	v_bfe_u32 v18, v19, 16, 1
	s_delay_alu instid0(VALU_DEP_1)
	v_add3_u32 v18, v19, v18, 0x7fff
                                        ; implicit-def: $vgpr19
; %bb.6:
	s_and_not1_saveexec_b32 s2, s1
; %bb.7:
	v_and_b32_e32 v18, 0xffff, v19
	v_or_b32_e32 v20, 0x10000, v19
	s_delay_alu instid0(VALU_DEP_2) | instskip(NEXT) | instid1(VALU_DEP_1)
	v_cmp_eq_u32_e64 s1, 0, v18
	v_cndmask_b32_e64 v18, v20, v19, s1
; %bb.8:
	s_or_b32 exec_lo, exec_lo, s2
	v_add_f32_e32 v19, v13, v9
	s_delay_alu instid0(VALU_DEP_1) | instskip(NEXT) | instid1(VALU_DEP_1)
	v_mul_f32_e32 v20, s8, v19
	v_and_b32_e32 v19, 0x7f800000, v20
	s_delay_alu instid0(VALU_DEP_1) | instskip(NEXT) | instid1(VALU_DEP_1)
	v_cmp_ne_u32_e64 s1, 0x7f800000, v19
                                        ; implicit-def: $vgpr19
	s_and_saveexec_b32 s2, s1
	s_delay_alu instid0(SALU_CYCLE_1)
	s_xor_b32 s1, exec_lo, s2
; %bb.9:
	v_bfe_u32 v19, v20, 16, 1
	s_delay_alu instid0(VALU_DEP_1)
	v_add3_u32 v19, v20, v19, 0x7fff
                                        ; implicit-def: $vgpr20
; %bb.10:
	s_and_not1_saveexec_b32 s2, s1
; %bb.11:
	v_and_b32_e32 v19, 0xffff, v20
	v_or_b32_e32 v21, 0x10000, v20
	s_delay_alu instid0(VALU_DEP_2) | instskip(NEXT) | instid1(VALU_DEP_1)
	v_cmp_eq_u32_e64 s1, 0, v19
	v_cndmask_b32_e64 v19, v21, v20, s1
; %bb.12:
	s_or_b32 exec_lo, exec_lo, s2
	v_add_f32_e32 v20, v14, v10
	s_delay_alu instid0(VALU_DEP_1) | instskip(NEXT) | instid1(VALU_DEP_1)
	v_mul_f32_e32 v21, s8, v20
	v_and_b32_e32 v20, 0x7f800000, v21
	s_delay_alu instid0(VALU_DEP_1) | instskip(NEXT) | instid1(VALU_DEP_1)
	v_cmp_ne_u32_e64 s1, 0x7f800000, v20
                                        ; implicit-def: $vgpr20
	s_and_saveexec_b32 s2, s1
	s_delay_alu instid0(SALU_CYCLE_1)
	s_xor_b32 s1, exec_lo, s2
; %bb.13:
	v_bfe_u32 v20, v21, 16, 1
	s_delay_alu instid0(VALU_DEP_1)
	v_add3_u32 v20, v21, v20, 0x7fff
                                        ; implicit-def: $vgpr21
; %bb.14:
	s_and_not1_saveexec_b32 s2, s1
; %bb.15:
	v_and_b32_e32 v20, 0xffff, v21
	v_or_b32_e32 v22, 0x10000, v21
	s_delay_alu instid0(VALU_DEP_2) | instskip(NEXT) | instid1(VALU_DEP_1)
	v_cmp_eq_u32_e64 s1, 0, v20
	v_cndmask_b32_e64 v20, v22, v21, s1
; %bb.16:
	s_or_b32 exec_lo, exec_lo, s2
	v_add_f32_e32 v21, v15, v11
	s_delay_alu instid0(VALU_DEP_1) | instskip(NEXT) | instid1(VALU_DEP_1)
	v_mul_f32_e32 v22, s8, v21
	v_and_b32_e32 v21, 0x7f800000, v22
	s_delay_alu instid0(VALU_DEP_1) | instskip(NEXT) | instid1(VALU_DEP_1)
	v_cmp_ne_u32_e64 s1, 0x7f800000, v21
                                        ; implicit-def: $vgpr21
	s_and_saveexec_b32 s2, s1
	s_delay_alu instid0(SALU_CYCLE_1)
	s_xor_b32 s1, exec_lo, s2
; %bb.17:
	v_bfe_u32 v21, v22, 16, 1
	s_delay_alu instid0(VALU_DEP_1)
	v_add3_u32 v21, v22, v21, 0x7fff
                                        ; implicit-def: $vgpr22
; %bb.18:
	s_and_not1_saveexec_b32 s2, s1
; %bb.19:
	v_and_b32_e32 v21, 0xffff, v22
	v_or_b32_e32 v23, 0x10000, v22
	s_delay_alu instid0(VALU_DEP_2) | instskip(NEXT) | instid1(VALU_DEP_1)
	v_cmp_eq_u32_e64 s1, 0, v21
	v_cndmask_b32_e64 v21, v23, v22, s1
; %bb.20:
	s_or_b32 exec_lo, exec_lo, s2
	s_waitcnt lgkmcnt(0)
	v_add_f32_e32 v22, v0, v4
	s_delay_alu instid0(VALU_DEP_1) | instskip(NEXT) | instid1(VALU_DEP_1)
	v_mul_f32_e32 v23, s8, v22
	v_and_b32_e32 v22, 0x7f800000, v23
	s_delay_alu instid0(VALU_DEP_1) | instskip(NEXT) | instid1(VALU_DEP_1)
	v_cmp_ne_u32_e64 s1, 0x7f800000, v22
                                        ; implicit-def: $vgpr22
	s_and_saveexec_b32 s2, s1
	s_delay_alu instid0(SALU_CYCLE_1)
	s_xor_b32 s1, exec_lo, s2
; %bb.21:
	v_bfe_u32 v22, v23, 16, 1
	s_delay_alu instid0(VALU_DEP_1)
	v_add3_u32 v22, v23, v22, 0x7fff
                                        ; implicit-def: $vgpr23
; %bb.22:
	s_and_not1_saveexec_b32 s2, s1
; %bb.23:
	v_and_b32_e32 v22, 0xffff, v23
	v_or_b32_e32 v24, 0x10000, v23
	s_delay_alu instid0(VALU_DEP_2) | instskip(NEXT) | instid1(VALU_DEP_1)
	v_cmp_eq_u32_e64 s1, 0, v22
	v_cndmask_b32_e64 v22, v24, v23, s1
; %bb.24:
	s_or_b32 exec_lo, exec_lo, s2
	v_add_f32_e32 v23, v1, v5
	s_delay_alu instid0(VALU_DEP_1) | instskip(NEXT) | instid1(VALU_DEP_1)
	v_mul_f32_e32 v24, s8, v23
	v_and_b32_e32 v23, 0x7f800000, v24
	s_delay_alu instid0(VALU_DEP_1) | instskip(NEXT) | instid1(VALU_DEP_1)
	v_cmp_ne_u32_e64 s1, 0x7f800000, v23
                                        ; implicit-def: $vgpr23
	s_and_saveexec_b32 s2, s1
	s_delay_alu instid0(SALU_CYCLE_1)
	s_xor_b32 s1, exec_lo, s2
; %bb.25:
	v_bfe_u32 v23, v24, 16, 1
	s_delay_alu instid0(VALU_DEP_1)
	v_add3_u32 v23, v24, v23, 0x7fff
                                        ; implicit-def: $vgpr24
; %bb.26:
	s_and_not1_saveexec_b32 s2, s1
; %bb.27:
	v_and_b32_e32 v23, 0xffff, v24
	v_or_b32_e32 v25, 0x10000, v24
	s_delay_alu instid0(VALU_DEP_2) | instskip(NEXT) | instid1(VALU_DEP_1)
	v_cmp_eq_u32_e64 s1, 0, v23
	v_cndmask_b32_e64 v23, v25, v24, s1
; %bb.28:
	s_or_b32 exec_lo, exec_lo, s2
	v_add_f32_e32 v24, v2, v6
	s_delay_alu instid0(VALU_DEP_1) | instskip(NEXT) | instid1(VALU_DEP_1)
	v_mul_f32_e32 v25, s8, v24
	v_and_b32_e32 v24, 0x7f800000, v25
	s_delay_alu instid0(VALU_DEP_1) | instskip(NEXT) | instid1(VALU_DEP_1)
	v_cmp_ne_u32_e64 s1, 0x7f800000, v24
                                        ; implicit-def: $vgpr24
	s_and_saveexec_b32 s2, s1
	s_delay_alu instid0(SALU_CYCLE_1)
	s_xor_b32 s1, exec_lo, s2
; %bb.29:
	v_bfe_u32 v24, v25, 16, 1
	s_delay_alu instid0(VALU_DEP_1)
	v_add3_u32 v24, v25, v24, 0x7fff
                                        ; implicit-def: $vgpr25
; %bb.30:
	s_and_not1_saveexec_b32 s2, s1
; %bb.31:
	v_and_b32_e32 v24, 0xffff, v25
	v_or_b32_e32 v26, 0x10000, v25
	s_delay_alu instid0(VALU_DEP_2) | instskip(NEXT) | instid1(VALU_DEP_1)
	v_cmp_eq_u32_e64 s1, 0, v24
	v_cndmask_b32_e64 v24, v26, v25, s1
; %bb.32:
	s_or_b32 exec_lo, exec_lo, s2
	v_add_f32_e32 v25, v3, v7
	s_delay_alu instid0(VALU_DEP_1) | instskip(NEXT) | instid1(VALU_DEP_1)
	v_mul_f32_e32 v26, s8, v25
	v_and_b32_e32 v25, 0x7f800000, v26
	s_delay_alu instid0(VALU_DEP_1) | instskip(NEXT) | instid1(VALU_DEP_1)
	v_cmp_ne_u32_e64 s1, 0x7f800000, v25
                                        ; implicit-def: $vgpr25
	s_and_saveexec_b32 s2, s1
	s_delay_alu instid0(SALU_CYCLE_1)
	s_xor_b32 s1, exec_lo, s2
; %bb.33:
	v_bfe_u32 v25, v26, 16, 1
	s_delay_alu instid0(VALU_DEP_1)
	v_add3_u32 v25, v26, v25, 0x7fff
                                        ; implicit-def: $vgpr26
; %bb.34:
	s_and_not1_saveexec_b32 s2, s1
; %bb.35:
	v_and_b32_e32 v25, 0xffff, v26
	v_or_b32_e32 v27, 0x10000, v26
	s_delay_alu instid0(VALU_DEP_2) | instskip(NEXT) | instid1(VALU_DEP_1)
	v_cmp_eq_u32_e64 s1, 0, v25
	v_cndmask_b32_e64 v25, v27, v26, s1
; %bb.36:
	s_or_b32 exec_lo, exec_lo, s2
	v_sub_f32_e32 v8, v12, v8
	s_delay_alu instid0(VALU_DEP_1) | instskip(NEXT) | instid1(VALU_DEP_1)
	v_mul_f32_e32 v12, s8, v8
	v_and_b32_e32 v8, 0x7f800000, v12
	s_delay_alu instid0(VALU_DEP_1) | instskip(NEXT) | instid1(VALU_DEP_1)
	v_cmp_ne_u32_e64 s1, 0x7f800000, v8
                                        ; implicit-def: $vgpr8
	s_and_saveexec_b32 s2, s1
	s_delay_alu instid0(SALU_CYCLE_1)
	s_xor_b32 s1, exec_lo, s2
; %bb.37:
	v_bfe_u32 v8, v12, 16, 1
	s_delay_alu instid0(VALU_DEP_1)
	v_add3_u32 v8, v12, v8, 0x7fff
                                        ; implicit-def: $vgpr12
; %bb.38:
	s_and_not1_saveexec_b32 s2, s1
; %bb.39:
	v_and_b32_e32 v8, 0xffff, v12
	v_or_b32_e32 v26, 0x10000, v12
	s_delay_alu instid0(VALU_DEP_2) | instskip(NEXT) | instid1(VALU_DEP_1)
	v_cmp_eq_u32_e64 s1, 0, v8
	v_cndmask_b32_e64 v8, v26, v12, s1
; %bb.40:
	s_or_b32 exec_lo, exec_lo, s2
	v_sub_f32_e32 v9, v13, v9
	s_delay_alu instid0(VALU_DEP_1) | instskip(NEXT) | instid1(VALU_DEP_1)
	v_mul_f32_e32 v12, s8, v9
	v_and_b32_e32 v9, 0x7f800000, v12
	s_delay_alu instid0(VALU_DEP_1) | instskip(NEXT) | instid1(VALU_DEP_1)
	v_cmp_ne_u32_e64 s1, 0x7f800000, v9
                                        ; implicit-def: $vgpr9
	s_and_saveexec_b32 s2, s1
	s_delay_alu instid0(SALU_CYCLE_1)
	s_xor_b32 s1, exec_lo, s2
; %bb.41:
	v_bfe_u32 v9, v12, 16, 1
	s_delay_alu instid0(VALU_DEP_1)
	v_add3_u32 v9, v12, v9, 0x7fff
                                        ; implicit-def: $vgpr12
; %bb.42:
	s_and_not1_saveexec_b32 s2, s1
; %bb.43:
	v_and_b32_e32 v9, 0xffff, v12
	v_or_b32_e32 v13, 0x10000, v12
	s_delay_alu instid0(VALU_DEP_2) | instskip(NEXT) | instid1(VALU_DEP_1)
	v_cmp_eq_u32_e64 s1, 0, v9
	v_cndmask_b32_e64 v9, v13, v12, s1
; %bb.44:
	s_or_b32 exec_lo, exec_lo, s2
	v_sub_f32_e32 v10, v14, v10
	s_delay_alu instid0(VALU_DEP_1) | instskip(NEXT) | instid1(VALU_DEP_1)
	v_mul_f32_e32 v12, s8, v10
	v_and_b32_e32 v10, 0x7f800000, v12
	s_delay_alu instid0(VALU_DEP_1) | instskip(NEXT) | instid1(VALU_DEP_1)
	v_cmp_ne_u32_e64 s1, 0x7f800000, v10
                                        ; implicit-def: $vgpr10
	s_and_saveexec_b32 s2, s1
	s_delay_alu instid0(SALU_CYCLE_1)
	s_xor_b32 s1, exec_lo, s2
; %bb.45:
	v_bfe_u32 v10, v12, 16, 1
	s_delay_alu instid0(VALU_DEP_1)
	v_add3_u32 v10, v12, v10, 0x7fff
                                        ; implicit-def: $vgpr12
; %bb.46:
	s_and_not1_saveexec_b32 s2, s1
; %bb.47:
	v_and_b32_e32 v10, 0xffff, v12
	v_or_b32_e32 v13, 0x10000, v12
	s_delay_alu instid0(VALU_DEP_2) | instskip(NEXT) | instid1(VALU_DEP_1)
	v_cmp_eq_u32_e64 s1, 0, v10
	v_cndmask_b32_e64 v10, v13, v12, s1
; %bb.48:
	s_or_b32 exec_lo, exec_lo, s2
	v_sub_f32_e32 v11, v15, v11
	s_delay_alu instid0(VALU_DEP_1) | instskip(NEXT) | instid1(VALU_DEP_1)
	v_mul_f32_e32 v12, s8, v11
	v_and_b32_e32 v11, 0x7f800000, v12
	s_delay_alu instid0(VALU_DEP_1) | instskip(NEXT) | instid1(VALU_DEP_1)
	v_cmp_ne_u32_e64 s1, 0x7f800000, v11
                                        ; implicit-def: $vgpr11
	s_and_saveexec_b32 s2, s1
	s_delay_alu instid0(SALU_CYCLE_1)
	s_xor_b32 s1, exec_lo, s2
; %bb.49:
	v_bfe_u32 v11, v12, 16, 1
	s_delay_alu instid0(VALU_DEP_1)
	v_add3_u32 v11, v12, v11, 0x7fff
                                        ; implicit-def: $vgpr12
; %bb.50:
	s_and_not1_saveexec_b32 s2, s1
; %bb.51:
	v_and_b32_e32 v11, 0xffff, v12
	v_or_b32_e32 v13, 0x10000, v12
	s_delay_alu instid0(VALU_DEP_2) | instskip(NEXT) | instid1(VALU_DEP_1)
	v_cmp_eq_u32_e64 s1, 0, v11
	v_cndmask_b32_e64 v11, v13, v12, s1
; %bb.52:
	s_or_b32 exec_lo, exec_lo, s2
	v_sub_f32_e32 v0, v0, v4
	s_delay_alu instid0(VALU_DEP_1) | instskip(NEXT) | instid1(VALU_DEP_1)
	v_mul_f32_e32 v4, s8, v0
	v_and_b32_e32 v0, 0x7f800000, v4
	s_delay_alu instid0(VALU_DEP_1) | instskip(NEXT) | instid1(VALU_DEP_1)
	v_cmp_ne_u32_e64 s1, 0x7f800000, v0
                                        ; implicit-def: $vgpr0
	s_and_saveexec_b32 s2, s1
	s_delay_alu instid0(SALU_CYCLE_1)
	s_xor_b32 s1, exec_lo, s2
; %bb.53:
	v_bfe_u32 v0, v4, 16, 1
	s_delay_alu instid0(VALU_DEP_1)
	v_add3_u32 v0, v4, v0, 0x7fff
                                        ; implicit-def: $vgpr4
; %bb.54:
	s_and_not1_saveexec_b32 s2, s1
; %bb.55:
	v_and_b32_e32 v0, 0xffff, v4
	v_or_b32_e32 v12, 0x10000, v4
	s_delay_alu instid0(VALU_DEP_2) | instskip(NEXT) | instid1(VALU_DEP_1)
	v_cmp_eq_u32_e64 s1, 0, v0
	v_cndmask_b32_e64 v0, v12, v4, s1
; %bb.56:
	s_or_b32 exec_lo, exec_lo, s2
	v_sub_f32_e32 v1, v1, v5
	s_delay_alu instid0(VALU_DEP_1) | instskip(NEXT) | instid1(VALU_DEP_1)
	v_mul_f32_e32 v4, s8, v1
	v_and_b32_e32 v1, 0x7f800000, v4
	s_delay_alu instid0(VALU_DEP_1) | instskip(NEXT) | instid1(VALU_DEP_1)
	v_cmp_ne_u32_e64 s1, 0x7f800000, v1
                                        ; implicit-def: $vgpr1
	s_and_saveexec_b32 s2, s1
	s_delay_alu instid0(SALU_CYCLE_1)
	s_xor_b32 s1, exec_lo, s2
; %bb.57:
	v_bfe_u32 v1, v4, 16, 1
	s_delay_alu instid0(VALU_DEP_1)
	v_add3_u32 v1, v4, v1, 0x7fff
                                        ; implicit-def: $vgpr4
; %bb.58:
	s_and_not1_saveexec_b32 s2, s1
; %bb.59:
	v_and_b32_e32 v1, 0xffff, v4
	v_or_b32_e32 v5, 0x10000, v4
	s_delay_alu instid0(VALU_DEP_2) | instskip(NEXT) | instid1(VALU_DEP_1)
	v_cmp_eq_u32_e64 s1, 0, v1
	v_cndmask_b32_e64 v1, v5, v4, s1
; %bb.60:
	s_or_b32 exec_lo, exec_lo, s2
	v_sub_f32_e32 v2, v2, v6
	s_delay_alu instid0(VALU_DEP_1) | instskip(NEXT) | instid1(VALU_DEP_1)
	v_mul_f32_e32 v4, s8, v2
	v_and_b32_e32 v2, 0x7f800000, v4
	s_delay_alu instid0(VALU_DEP_1) | instskip(NEXT) | instid1(VALU_DEP_1)
	v_cmp_ne_u32_e64 s1, 0x7f800000, v2
                                        ; implicit-def: $vgpr2
	s_and_saveexec_b32 s2, s1
	s_delay_alu instid0(SALU_CYCLE_1)
	s_xor_b32 s1, exec_lo, s2
; %bb.61:
	v_bfe_u32 v2, v4, 16, 1
	s_delay_alu instid0(VALU_DEP_1)
	v_add3_u32 v2, v4, v2, 0x7fff
                                        ; implicit-def: $vgpr4
; %bb.62:
	s_and_not1_saveexec_b32 s2, s1
; %bb.63:
	v_and_b32_e32 v2, 0xffff, v4
	v_or_b32_e32 v5, 0x10000, v4
	s_delay_alu instid0(VALU_DEP_2) | instskip(NEXT) | instid1(VALU_DEP_1)
	v_cmp_eq_u32_e64 s1, 0, v2
	v_cndmask_b32_e64 v2, v5, v4, s1
; %bb.64:
	s_or_b32 exec_lo, exec_lo, s2
	v_sub_f32_e32 v3, v3, v7
	s_delay_alu instid0(VALU_DEP_1) | instskip(NEXT) | instid1(VALU_DEP_1)
	v_mul_f32_e32 v4, s8, v3
	v_and_b32_e32 v3, 0x7f800000, v4
	s_delay_alu instid0(VALU_DEP_1) | instskip(NEXT) | instid1(VALU_DEP_1)
	v_cmp_ne_u32_e64 s1, 0x7f800000, v3
                                        ; implicit-def: $vgpr3
	s_and_saveexec_b32 s2, s1
	s_delay_alu instid0(SALU_CYCLE_1)
	s_xor_b32 s1, exec_lo, s2
; %bb.65:
	v_bfe_u32 v3, v4, 16, 1
	s_delay_alu instid0(VALU_DEP_1)
	v_add3_u32 v3, v4, v3, 0x7fff
                                        ; implicit-def: $vgpr4
; %bb.66:
	s_and_not1_saveexec_b32 s2, s1
; %bb.67:
	v_and_b32_e32 v3, 0xffff, v4
	v_or_b32_e32 v5, 0x10000, v4
	s_delay_alu instid0(VALU_DEP_2) | instskip(NEXT) | instid1(VALU_DEP_1)
	v_cmp_eq_u32_e64 s1, 0, v3
	v_cndmask_b32_e64 v3, v5, v4, s1
; %bb.68:
	s_or_b32 exec_lo, exec_lo, s2
	s_mul_i32 s1, s6, s12
	s_mul_hi_u32 s2, s6, s15
	s_mul_i32 s3, s7, s15
	s_add_i32 s1, s2, s1
	s_mul_i32 s2, s6, s15
	s_add_i32 s3, s1, s3
	s_delay_alu instid0(SALU_CYCLE_1) | instskip(NEXT) | instid1(SALU_CYCLE_1)
	s_lshl_b64 s[2:3], s[2:3], 1
	s_add_u32 s2, s10, s2
	s_addc_u32 s3, s11, s3
	s_and_saveexec_b32 s1, vcc_lo
	s_cbranch_execnz .LBB35_71
; %bb.69:
	s_or_b32 exec_lo, exec_lo, s1
	s_and_saveexec_b32 s1, s0
	s_cbranch_execnz .LBB35_72
.LBB35_70:
	s_nop 0
	s_sendmsg sendmsg(MSG_DEALLOC_VGPRS)
	s_endpgm
.LBB35_71:
	v_perm_b32 v7, v25, v24, 0x7060302
	v_perm_b32 v6, v23, v22, 0x7060302
	;; [unrolled: 1-line block ×4, first 2 shown]
	global_store_b128 v16, v[4:7], s[2:3]
	s_or_b32 exec_lo, exec_lo, s1
	s_and_saveexec_b32 s1, s0
	s_cbranch_execz .LBB35_70
.LBB35_72:
	v_perm_b32 v3, v3, v2, 0x7060302
	v_perm_b32 v2, v1, v0, 0x7060302
	;; [unrolled: 1-line block ×4, first 2 shown]
	global_store_b128 v17, v[0:3], s[2:3]
	s_nop 0
	s_sendmsg sendmsg(MSG_DEALLOC_VGPRS)
	s_endpgm
	.section	.rodata,"a",@progbits
	.p2align	6, 0x0
	.amdhsa_kernel _Z30fast_hadamard_transform_kernelI37fast_hadamard_transform_kernel_traitsILi256ELi12E14__hip_bfloat16EEv18HadamardParamsBase
		.amdhsa_group_segment_fixed_size 0
		.amdhsa_private_segment_fixed_size 0
		.amdhsa_kernarg_size 312
		.amdhsa_user_sgpr_count 15
		.amdhsa_user_sgpr_dispatch_ptr 0
		.amdhsa_user_sgpr_queue_ptr 0
		.amdhsa_user_sgpr_kernarg_segment_ptr 1
		.amdhsa_user_sgpr_dispatch_id 0
		.amdhsa_user_sgpr_private_segment_size 0
		.amdhsa_wavefront_size32 1
		.amdhsa_uses_dynamic_stack 0
		.amdhsa_enable_private_segment 0
		.amdhsa_system_sgpr_workgroup_id_x 1
		.amdhsa_system_sgpr_workgroup_id_y 0
		.amdhsa_system_sgpr_workgroup_id_z 0
		.amdhsa_system_sgpr_workgroup_info 0
		.amdhsa_system_vgpr_workitem_id 0
		.amdhsa_next_free_vgpr 34
		.amdhsa_next_free_sgpr 16
		.amdhsa_reserve_vcc 1
		.amdhsa_float_round_mode_32 0
		.amdhsa_float_round_mode_16_64 0
		.amdhsa_float_denorm_mode_32 3
		.amdhsa_float_denorm_mode_16_64 3
		.amdhsa_dx10_clamp 1
		.amdhsa_ieee_mode 1
		.amdhsa_fp16_overflow 0
		.amdhsa_workgroup_processor_mode 1
		.amdhsa_memory_ordered 1
		.amdhsa_forward_progress 0
		.amdhsa_shared_vgpr_count 0
		.amdhsa_exception_fp_ieee_invalid_op 0
		.amdhsa_exception_fp_denorm_src 0
		.amdhsa_exception_fp_ieee_div_zero 0
		.amdhsa_exception_fp_ieee_overflow 0
		.amdhsa_exception_fp_ieee_underflow 0
		.amdhsa_exception_fp_ieee_inexact 0
		.amdhsa_exception_int_div_zero 0
	.end_amdhsa_kernel
	.section	.text._Z30fast_hadamard_transform_kernelI37fast_hadamard_transform_kernel_traitsILi256ELi12E14__hip_bfloat16EEv18HadamardParamsBase,"axG",@progbits,_Z30fast_hadamard_transform_kernelI37fast_hadamard_transform_kernel_traitsILi256ELi12E14__hip_bfloat16EEv18HadamardParamsBase,comdat
.Lfunc_end35:
	.size	_Z30fast_hadamard_transform_kernelI37fast_hadamard_transform_kernel_traitsILi256ELi12E14__hip_bfloat16EEv18HadamardParamsBase, .Lfunc_end35-_Z30fast_hadamard_transform_kernelI37fast_hadamard_transform_kernel_traitsILi256ELi12E14__hip_bfloat16EEv18HadamardParamsBase
                                        ; -- End function
	.section	.AMDGPU.csdata,"",@progbits
; Kernel info:
; codeLenInByte = 5932
; NumSgprs: 18
; NumVgprs: 34
; ScratchSize: 0
; MemoryBound: 0
; FloatMode: 240
; IeeeMode: 1
; LDSByteSize: 0 bytes/workgroup (compile time only)
; SGPRBlocks: 2
; VGPRBlocks: 4
; NumSGPRsForWavesPerEU: 18
; NumVGPRsForWavesPerEU: 34
; Occupancy: 16
; WaveLimiterHint : 0
; COMPUTE_PGM_RSRC2:SCRATCH_EN: 0
; COMPUTE_PGM_RSRC2:USER_SGPR: 15
; COMPUTE_PGM_RSRC2:TRAP_HANDLER: 0
; COMPUTE_PGM_RSRC2:TGID_X_EN: 1
; COMPUTE_PGM_RSRC2:TGID_Y_EN: 0
; COMPUTE_PGM_RSRC2:TGID_Z_EN: 0
; COMPUTE_PGM_RSRC2:TIDIG_COMP_CNT: 0
	.section	.text._Z30fast_hadamard_transform_kernelI37fast_hadamard_transform_kernel_traitsILi256ELi13E14__hip_bfloat16EEv18HadamardParamsBase,"axG",@progbits,_Z30fast_hadamard_transform_kernelI37fast_hadamard_transform_kernel_traitsILi256ELi13E14__hip_bfloat16EEv18HadamardParamsBase,comdat
	.protected	_Z30fast_hadamard_transform_kernelI37fast_hadamard_transform_kernel_traitsILi256ELi13E14__hip_bfloat16EEv18HadamardParamsBase ; -- Begin function _Z30fast_hadamard_transform_kernelI37fast_hadamard_transform_kernel_traitsILi256ELi13E14__hip_bfloat16EEv18HadamardParamsBase
	.globl	_Z30fast_hadamard_transform_kernelI37fast_hadamard_transform_kernel_traitsILi256ELi13E14__hip_bfloat16EEv18HadamardParamsBase
	.p2align	8
	.type	_Z30fast_hadamard_transform_kernelI37fast_hadamard_transform_kernel_traitsILi256ELi13E14__hip_bfloat16EEv18HadamardParamsBase,@function
_Z30fast_hadamard_transform_kernelI37fast_hadamard_transform_kernel_traitsILi256ELi13E14__hip_bfloat16EEv18HadamardParamsBase: ; @_Z30fast_hadamard_transform_kernelI37fast_hadamard_transform_kernel_traitsILi256ELi13E14__hip_bfloat16EEv18HadamardParamsBase
; %bb.0:
	s_clause 0x3
	s_load_b128 s[8:11], s[0:1], 0x10
	s_load_b32 s6, s[0:1], 0x4
	s_load_b128 s[16:19], s[0:1], 0x28
	s_load_b32 s2, s[0:1], 0x44
	s_ashr_i32 s12, s15, 31
	v_lshlrev_b32_e32 v9, 3, v0
	v_dual_mov_b32 v1, 0 :: v_dual_mov_b32 v2, 0
	v_dual_mov_b32 v3, 0 :: v_dual_mov_b32 v4, 0
	;; [unrolled: 1-line block ×4, first 2 shown]
	v_lshlrev_b32_e32 v32, 4, v0
	s_waitcnt lgkmcnt(0)
	s_mul_hi_u32 s3, s8, s15
	s_mul_i32 s4, s8, s12
	s_mul_i32 s5, s9, s15
	s_add_i32 s3, s3, s4
	s_mul_i32 s4, s8, s15
	s_add_i32 s5, s3, s5
	v_cmp_gt_u32_e32 vcc_lo, s6, v9
	v_mov_b32_e32 v9, 0
	s_lshl_b64 s[4:5], s[4:5], 1
	s_delay_alu instid0(SALU_CYCLE_1)
	s_add_u32 s4, s16, s4
	s_addc_u32 s5, s17, s5
	s_and_saveexec_b32 s3, vcc_lo
	s_cbranch_execz .LBB36_2
; %bb.1:
	global_load_b128 v[10:13], v32, s[4:5]
	s_waitcnt vmcnt(0)
	v_and_b32_e32 v9, 0xffff0000, v10
	v_lshlrev_b32_e32 v8, 16, v10
	v_and_b32_e32 v7, 0xffff0000, v11
	v_lshlrev_b32_e32 v6, 16, v11
	;; [unrolled: 2-line block ×4, first 2 shown]
.LBB36_2:
	s_or_b32 exec_lo, exec_lo, s3
	s_and_b32 s7, 0xffff, s2
	v_dual_mov_b32 v11, 0 :: v_dual_mov_b32 v12, 0
	v_dual_mov_b32 v10, 0 :: v_dual_add_nc_u32 v17, s7, v0
	v_dual_mov_b32 v14, 0 :: v_dual_mov_b32 v15, 0
	s_delay_alu instid0(VALU_DEP_2) | instskip(SKIP_1) | instid1(VALU_DEP_2)
	v_dual_mov_b32 v13, 0 :: v_dual_lshlrev_b32 v16, 3, v17
	v_lshlrev_b32_e32 v33, 4, v17
	v_cmp_gt_u32_e64 s2, s6, v16
	v_mov_b32_e32 v16, 0
	s_delay_alu instid0(VALU_DEP_2)
	s_and_saveexec_b32 s3, s2
	s_cbranch_execz .LBB36_4
; %bb.3:
	global_load_b128 v[18:21], v33, s[4:5]
	s_waitcnt vmcnt(0)
	v_and_b32_e32 v16, 0xffff0000, v18
	v_lshlrev_b32_e32 v15, 16, v18
	v_and_b32_e32 v14, 0xffff0000, v19
	v_lshlrev_b32_e32 v13, 16, v19
	;; [unrolled: 2-line block ×4, first 2 shown]
.LBB36_4:
	s_or_b32 exec_lo, exec_lo, s3
	v_dual_mov_b32 v17, 0 :: v_dual_add_nc_u32 v26, s7, v17
	v_dual_mov_b32 v18, 0 :: v_dual_mov_b32 v19, 0
	v_dual_mov_b32 v20, 0 :: v_dual_mov_b32 v21, 0
	s_delay_alu instid0(VALU_DEP_3) | instskip(SKIP_2) | instid1(VALU_DEP_3)
	v_dual_mov_b32 v23, 0 :: v_dual_lshlrev_b32 v24, 3, v26
	v_dual_mov_b32 v22, 0 :: v_dual_mov_b32 v25, 0
	v_lshlrev_b32_e32 v34, 4, v26
	v_cmp_gt_u32_e64 s3, s6, v24
	v_mov_b32_e32 v24, 0
	s_delay_alu instid0(VALU_DEP_2)
	s_and_saveexec_b32 s8, s3
	s_cbranch_execz .LBB36_6
; %bb.5:
	global_load_b128 v[27:30], v34, s[4:5]
	s_waitcnt vmcnt(0)
	v_and_b32_e32 v25, 0xffff0000, v27
	v_lshlrev_b32_e32 v24, 16, v27
	v_and_b32_e32 v23, 0xffff0000, v28
	v_lshlrev_b32_e32 v22, 16, v28
	;; [unrolled: 2-line block ×4, first 2 shown]
.LBB36_6:
	s_or_b32 exec_lo, exec_lo, s8
	s_load_b32 s8, s[0:1], 0x20
	v_dual_mov_b32 v26, 0 :: v_dual_add_nc_u32 v27, s7, v26
	v_dual_mov_b32 v29, 0 :: v_dual_mov_b32 v30, 0
	v_dual_mov_b32 v31, 0 :: v_dual_mov_b32 v36, 0
	s_delay_alu instid0(VALU_DEP_3) | instskip(SKIP_2) | instid1(VALU_DEP_3)
	v_lshlrev_b32_e32 v28, 3, v27
	v_lshlrev_b32_e32 v35, 4, v27
	v_mov_b32_e32 v27, 0
	v_cmp_gt_u32_e64 s0, s6, v28
	v_mov_b32_e32 v28, 0
	s_delay_alu instid0(VALU_DEP_2)
	s_and_saveexec_b32 s1, s0
	s_cbranch_execz .LBB36_8
; %bb.7:
	global_load_b128 v[37:40], v35, s[4:5]
	s_waitcnt vmcnt(0)
	v_and_b32_e32 v36, 0xffff0000, v37
	v_lshlrev_b32_e32 v31, 16, v37
	v_and_b32_e32 v30, 0xffff0000, v38
	v_lshlrev_b32_e32 v29, 16, v38
	;; [unrolled: 2-line block ×4, first 2 shown]
.LBB36_8:
	s_or_b32 exec_lo, exec_lo, s1
	v_add_f32_e32 v37, v8, v9
	v_dual_sub_f32 v8, v8, v9 :: v_dual_add_f32 v9, v15, v16
	v_dual_sub_f32 v15, v15, v16 :: v_dual_add_f32 v16, v24, v25
	;; [unrolled: 1-line block ×15, first 2 shown]
	v_sub_f32_e32 v17, v17, v26
	v_add_f32_e32 v26, v37, v36
	v_sub_f32_e32 v36, v37, v36
	v_add_f32_e32 v37, v9, v7
	;; [unrolled: 2-line block ×17, first 2 shown]
	v_dual_sub_f32 v26, v26, v31 :: v_dual_add_f32 v31, v37, v30
	v_sub_f32_e32 v30, v37, v30
	v_add_f32_e32 v37, v9, v5
	v_sub_f32_e32 v5, v9, v5
	v_add_f32_e32 v9, v16, v12
	;; [unrolled: 2-line block ×3, first 2 shown]
	v_sub_f32_e32 v21, v25, v21
	v_dual_add_f32 v25, v8, v4 :: v_dual_add_f32 v38, v15, v1
	v_sub_f32_e32 v8, v8, v4
	v_mbcnt_lo_u32_b32 v4, -1, 0
	v_sub_f32_e32 v15, v15, v1
	v_add_f32_e32 v39, v24, v20
	v_sub_f32_e32 v20, v24, v20
	v_add_f32_e32 v24, v36, v28
	v_xor_b32_e32 v1, 1, v4
	v_sub_f32_e32 v28, v36, v28
	v_add_f32_e32 v36, v7, v3
	v_sub_f32_e32 v3, v7, v3
	v_add_f32_e32 v7, v14, v10
	v_cmp_gt_i32_e64 s1, 32, v1
	v_sub_f32_e32 v10, v14, v10
	v_add_f32_e32 v14, v23, v19
	v_sub_f32_e32 v19, v23, v19
	v_add_f32_e32 v23, v6, v2
	;; [unrolled: 2-line block ×3, first 2 shown]
	v_sub_f32_e32 v11, v13, v11
	v_and_b32_e32 v13, 1, v0
	v_cndmask_b32_e64 v1, v4, v1, s1
	v_add_f32_e32 v45, v22, v18
	s_waitcnt lgkmcnt(0)
	s_barrier
	v_cmp_eq_u32_e64 s1, 0, v13
	v_dual_sub_f32 v13, v22, v18 :: v_dual_add_f32 v18, v29, v17
	buffer_gl0_inv
	v_cndmask_b32_e64 v22, -v27, v27, s1
	v_lshlrev_b32_e32 v1, 2, v1
	ds_bpermute_b32 v40, v1, v27
	s_waitcnt lgkmcnt(0)
	v_add_f32_e32 v22, v22, v40
	ds_bpermute_b32 v41, v1, v16
	ds_bpermute_b32 v42, v1, v24
	;; [unrolled: 1-line block ×4, first 2 shown]
	v_cndmask_b32_e64 v26, -v26, v26, s1
	v_sub_f32_e32 v17, v29, v17
	ds_bpermute_b32 v27, v1, v21
	ds_bpermute_b32 v29, v1, v28
	;; [unrolled: 1-line block ×5, first 2 shown]
	v_cndmask_b32_e64 v16, -v16, v16, s1
	v_cndmask_b32_e64 v24, -v24, v24, s1
	;; [unrolled: 1-line block ×7, first 2 shown]
	ds_bpermute_b32 v48, v1, v25
	v_cndmask_b32_e64 v25, -v25, v25, s1
	s_waitcnt lgkmcnt(9)
	v_add_f32_e32 v16, v16, v41
	s_waitcnt lgkmcnt(7)
	v_dual_add_f32 v24, v24, v42 :: v_dual_add_f32 v23, v23, v43
	ds_bpermute_b32 v41, v1, v6
	ds_bpermute_b32 v42, v1, v30
	;; [unrolled: 1-line block ×3, first 2 shown]
	s_waitcnt lgkmcnt(8)
	v_add_f32_e32 v21, v21, v27
	v_cndmask_b32_e64 v6, -v6, v6, s1
	v_cndmask_b32_e64 v30, -v30, v30, s1
	s_waitcnt lgkmcnt(6)
	v_dual_add_f32 v27, v28, v29 :: v_dual_add_f32 v28, v2, v46
	s_waitcnt lgkmcnt(5)
	v_add_f32_e32 v29, v31, v47
	v_cndmask_b32_e64 v2, -v36, v36, s1
	ds_bpermute_b32 v31, v1, v11
	ds_bpermute_b32 v36, v1, v37
	;; [unrolled: 1-line block ×3, first 2 shown]
	v_cndmask_b32_e64 v8, -v8, v8, s1
	s_waitcnt lgkmcnt(7)
	v_add_f32_e32 v40, v2, v40
	v_cndmask_b32_e64 v2, -v11, v11, s1
	v_cndmask_b32_e64 v11, -v37, v37, s1
	;; [unrolled: 1-line block ×3, first 2 shown]
	ds_bpermute_b32 v38, v1, v5
	v_add_f32_e32 v26, v26, v44
	s_waitcnt lgkmcnt(6)
	v_add_f32_e32 v6, v6, v41
	ds_bpermute_b32 v44, v1, v3
	s_waitcnt lgkmcnt(5)
	v_add_f32_e32 v8, v8, v43
	ds_bpermute_b32 v41, v1, v15
	ds_bpermute_b32 v47, v1, v7
	v_cndmask_b32_e64 v3, -v3, v3, s1
	v_add_f32_e32 v30, v30, v42
	ds_bpermute_b32 v42, v1, v10
	v_cndmask_b32_e64 v10, -v10, v10, s1
	v_cndmask_b32_e64 v7, -v7, v7, s1
	s_waitcnt lgkmcnt(7)
	v_add_f32_e32 v31, v2, v31
	v_cndmask_b32_e64 v2, -v5, v5, s1
	v_add_f32_e32 v25, v25, v48
	ds_bpermute_b32 v48, v1, v45
	v_cndmask_b32_e64 v5, -v15, v15, s1
	ds_bpermute_b32 v15, v1, v39
	v_cndmask_b32_e64 v45, -v45, v45, s1
	s_waitcnt lgkmcnt(6)
	v_dual_add_f32 v11, v11, v36 :: v_dual_add_f32 v38, v2, v38
	v_cndmask_b32_e64 v2, -v39, v39, s1
	v_xor_b32_e32 v39, 2, v4
	s_waitcnt lgkmcnt(5)
	v_dual_add_f32 v3, v3, v44 :: v_dual_add_f32 v36, v37, v46
	ds_bpermute_b32 v46, v1, v18
	v_cndmask_b32_e64 v18, -v18, v18, s1
	v_cmp_gt_i32_e64 s4, 32, v39
	ds_bpermute_b32 v44, v1, v9
	s_waitcnt lgkmcnt(4)
	v_add_f32_e32 v10, v10, v42
	ds_bpermute_b32 v42, v1, v20
	v_cndmask_b32_e64 v9, -v9, v9, s1
	v_cndmask_b32_e64 v39, v4, v39, s4
	v_cndmask_b32_e64 v20, -v20, v20, s1
	v_add_f32_e32 v5, v5, v41
	s_waitcnt lgkmcnt(4)
	v_add_f32_e32 v37, v45, v48
	ds_bpermute_b32 v45, v1, v14
	s_waitcnt lgkmcnt(4)
	v_add_f32_e32 v15, v2, v15
	v_lshlrev_b32_e32 v2, 2, v39
	ds_bpermute_b32 v43, v1, v13
	v_cndmask_b32_e64 v14, -v14, v14, s1
	v_add_f32_e32 v7, v7, v47
	v_cndmask_b32_e64 v13, -v13, v13, s1
	ds_bpermute_b32 v47, v2, v24
	v_and_b32_e32 v39, 2, v0
	ds_bpermute_b32 v49, v2, v26
	ds_bpermute_b32 v41, v1, v12
	ds_bpermute_b32 v48, v2, v23
	s_waitcnt lgkmcnt(8)
	v_add_f32_e32 v18, v18, v46
	v_cmp_eq_u32_e64 s4, 0, v39
	ds_bpermute_b32 v39, v2, v21
	ds_bpermute_b32 v46, v2, v16
	s_waitcnt lgkmcnt(8)
	v_add_f32_e32 v20, v20, v42
	ds_bpermute_b32 v42, v2, v28
	v_cndmask_b32_e64 v26, -v26, v26, s4
	v_cndmask_b32_e64 v16, -v16, v16, s4
	s_waitcnt lgkmcnt(8)
	v_add_f32_e32 v14, v14, v45
	ds_bpermute_b32 v45, v2, v22
	v_cndmask_b32_e64 v22, -v22, v22, s4
	s_waitcnt lgkmcnt(8)
	v_add_f32_e32 v13, v13, v43
	ds_bpermute_b32 v43, v1, v19
	v_cndmask_b32_e64 v19, -v19, v19, s1
	v_add_f32_e32 v9, v9, v44
	ds_bpermute_b32 v44, v1, v17
	v_cndmask_b32_e64 v12, -v12, v12, s1
	s_waitcnt lgkmcnt(8)
	v_add_f32_e32 v26, v26, v49
	ds_bpermute_b32 v49, v2, v3
	v_cndmask_b32_e64 v24, -v24, v24, s4
	v_cndmask_b32_e64 v23, -v23, v23, s4
	;; [unrolled: 1-line block ×4, first 2 shown]
	s_waitcnt lgkmcnt(5)
	v_add_f32_e32 v16, v16, v46
	v_add_f32_e32 v12, v12, v41
	;; [unrolled: 1-line block ×3, first 2 shown]
	v_cndmask_b32_e64 v28, -v28, v28, s4
	ds_bpermute_b32 v47, v2, v30
	v_cndmask_b32_e64 v30, -v30, v30, s4
	s_waitcnt lgkmcnt(4)
	v_add_f32_e32 v22, v22, v45
	ds_bpermute_b32 v45, v2, v40
	v_add_f32_e32 v23, v23, v48
	s_waitcnt lgkmcnt(4)
	v_add_f32_e32 v19, v19, v43
	ds_bpermute_b32 v43, v2, v29
	ds_bpermute_b32 v48, v2, v8
	v_cndmask_b32_e64 v8, -v8, v8, s4
	v_add_f32_e32 v21, v21, v39
	v_cndmask_b32_e64 v39, -v40, v40, s4
	v_cndmask_b32_e64 v3, -v3, v3, s4
	ds_bpermute_b32 v40, v2, v31
	ds_bpermute_b32 v41, v2, v27
	;; [unrolled: 1-line block ×3, first 2 shown]
	v_add_f32_e32 v28, v28, v42
	v_cndmask_b32_e64 v6, -v6, v6, s4
	s_waitcnt lgkmcnt(8)
	v_add_f32_e32 v17, v17, v44
	ds_bpermute_b32 v44, v2, v25
	ds_bpermute_b32 v42, v2, v36
	v_cndmask_b32_e64 v29, -v29, v29, s4
	v_cndmask_b32_e64 v27, -v27, v27, s4
	;; [unrolled: 1-line block ×3, first 2 shown]
	s_waitcnt lgkmcnt(7)
	v_add_f32_e32 v39, v39, v45
	v_add_f32_e32 v45, v3, v49
	v_cndmask_b32_e64 v3, -v31, v31, s4
	v_cndmask_b32_e64 v31, -v36, v36, s4
	ds_bpermute_b32 v36, v2, v38
	s_waitcnt lgkmcnt(7)
	v_add_f32_e32 v29, v29, v43
	v_add_f32_e32 v30, v30, v47
	ds_bpermute_b32 v47, v2, v10
	v_cndmask_b32_e64 v10, -v10, v10, s4
	s_waitcnt lgkmcnt(6)
	v_add_f32_e32 v40, v3, v40
	v_cndmask_b32_e64 v3, -v38, v38, s4
	ds_bpermute_b32 v38, v2, v15
	s_waitcnt lgkmcnt(6)
	v_add_f32_e32 v27, v27, v41
	ds_bpermute_b32 v41, v2, v11
	s_waitcnt lgkmcnt(6)
	v_add_f32_e32 v6, v6, v46
	ds_bpermute_b32 v46, v2, v5
	s_waitcnt lgkmcnt(5)
	v_add_f32_e32 v31, v31, v42
	v_cndmask_b32_e64 v5, -v5, v5, s4
	ds_bpermute_b32 v42, v2, v18
	v_cndmask_b32_e64 v11, -v11, v11, s4
	ds_bpermute_b32 v43, v2, v7
	v_cndmask_b32_e64 v7, -v7, v7, s4
	v_add_f32_e32 v8, v8, v48
	ds_bpermute_b32 v48, v2, v13
	s_waitcnt lgkmcnt(7)
	v_add_f32_e32 v36, v3, v36
	v_cndmask_b32_e64 v3, -v15, v15, s4
	v_add_f32_e32 v25, v25, v44
	ds_bpermute_b32 v44, v2, v37
	v_cndmask_b32_e64 v15, -v18, v18, s4
	v_xor_b32_e32 v18, 4, v4
	v_cndmask_b32_e64 v37, -v37, v37, s4
	s_waitcnt lgkmcnt(6)
	v_add_f32_e32 v38, v3, v38
	v_cndmask_b32_e64 v13, -v13, v13, s4
	ds_bpermute_b32 v49, v2, v9
	v_cmp_gt_i32_e64 s5, 32, v18
	v_add_f32_e32 v10, v10, v47
	v_cndmask_b32_e64 v9, -v9, v9, s4
	s_waitcnt lgkmcnt(5)
	v_add_f32_e32 v5, v5, v46
	s_waitcnt lgkmcnt(4)
	v_add_f32_e32 v15, v15, v42
	v_cndmask_b32_e64 v18, v4, v18, s5
	ds_bpermute_b32 v46, v2, v19
	v_cndmask_b32_e64 v19, -v19, v19, s4
	ds_bpermute_b32 v47, v2, v17
	v_cndmask_b32_e64 v17, -v17, v17, s4
	v_lshlrev_b32_e32 v3, 2, v18
	v_cndmask_b32_e64 v18, -v20, v20, s4
	ds_bpermute_b32 v42, v3, v16
	s_waitcnt lgkmcnt(4)
	v_add_f32_e32 v37, v37, v44
	ds_bpermute_b32 v44, v2, v20
	v_add_f32_e32 v11, v11, v41
	ds_bpermute_b32 v41, v2, v14
	v_and_b32_e32 v20, 4, v0
	v_cndmask_b32_e64 v14, -v14, v14, s4
	ds_bpermute_b32 v50, v3, v26
	v_add_f32_e32 v13, v13, v48
	ds_bpermute_b32 v48, v3, v24
	v_cmp_eq_u32_e64 s5, 0, v20
	s_delay_alu instid0(VALU_DEP_1) | instskip(SKIP_2) | instid1(VALU_DEP_1)
	v_cndmask_b32_e64 v20, -v22, v22, s5
	v_cndmask_b32_e64 v16, -v16, v16, s5
	s_waitcnt lgkmcnt(4)
	v_add_f32_e32 v16, v16, v42
	s_waitcnt lgkmcnt(3)
	v_add_f32_e32 v18, v18, v44
	;; [unrolled: 2-line block ×3, first 2 shown]
	ds_bpermute_b32 v41, v3, v22
	v_add_f32_e32 v7, v7, v43
	ds_bpermute_b32 v43, v2, v12
	v_cndmask_b32_e64 v12, -v12, v12, s4
	v_cndmask_b32_e64 v22, -v24, v24, s5
	;; [unrolled: 1-line block ×3, first 2 shown]
	ds_bpermute_b32 v26, v3, v21
	v_cndmask_b32_e64 v21, -v21, v21, s5
	s_waitcnt lgkmcnt(3)
	v_dual_add_f32 v9, v9, v49 :: v_dual_add_f32 v22, v22, v48
	v_add_f32_e32 v24, v24, v50
	s_waitcnt lgkmcnt(2)
	v_add_f32_e32 v20, v20, v41
	s_waitcnt lgkmcnt(1)
	v_add_f32_e32 v12, v12, v43
	ds_bpermute_b32 v43, v3, v27
	v_cndmask_b32_e64 v27, -v27, v27, s5
	s_waitcnt lgkmcnt(0)
	s_delay_alu instid0(VALU_DEP_1)
	v_dual_add_f32 v21, v21, v26 :: v_dual_add_f32 v26, v27, v43
	ds_bpermute_b32 v49, v3, v23
	v_cndmask_b32_e64 v23, -v23, v23, s5
	ds_bpermute_b32 v44, v3, v28
	ds_bpermute_b32 v43, v3, v40
	;; [unrolled: 1-line block ×4, first 2 shown]
	v_cndmask_b32_e64 v28, -v28, v28, s5
	v_cndmask_b32_e64 v40, -v40, v40, s5
	;; [unrolled: 1-line block ×3, first 2 shown]
	ds_bpermute_b32 v42, v3, v6
	v_cndmask_b32_e64 v6, -v6, v6, s5
	v_add_f32_e32 v17, v17, v47
	ds_bpermute_b32 v47, v3, v25
	v_cndmask_b32_e64 v25, -v25, v25, s5
	ds_bpermute_b32 v50, v3, v45
	s_waitcnt lgkmcnt(7)
	v_add_f32_e32 v23, v23, v49
	ds_bpermute_b32 v49, v3, v8
	v_cndmask_b32_e64 v8, -v8, v8, s5
	v_add_f32_e32 v19, v19, v46
	ds_bpermute_b32 v46, v3, v29
	v_cndmask_b32_e64 v29, -v29, v29, s5
	s_waitcnt lgkmcnt(7)
	v_add_f32_e32 v40, v40, v43
	ds_bpermute_b32 v43, v3, v38
	v_cndmask_b32_e64 v38, -v38, v38, s5
	v_add_f32_e32 v27, v28, v44
	s_waitcnt lgkmcnt(6)
	v_add_f32_e32 v30, v30, v48
	ds_bpermute_b32 v48, v3, v10
	v_cndmask_b32_e64 v10, -v10, v10, s5
	ds_bpermute_b32 v44, v3, v11
	s_waitcnt lgkmcnt(7)
	v_add_f32_e32 v6, v6, v42
	ds_bpermute_b32 v42, v3, v5
	v_cndmask_b32_e64 v11, -v11, v11, s5
	v_cndmask_b32_e64 v5, -v5, v5, s5
	s_waitcnt lgkmcnt(5)
	v_add_f32_e32 v8, v8, v49
	ds_bpermute_b32 v49, v3, v13
	v_cndmask_b32_e64 v13, -v13, v13, s5
	s_waitcnt lgkmcnt(5)
	v_add_f32_e32 v28, v29, v46
	v_cndmask_b32_e64 v29, -v39, v39, s5
	v_cndmask_b32_e64 v39, -v45, v45, s5
	s_waitcnt lgkmcnt(4)
	v_dual_add_f32 v38, v38, v43 :: v_dual_and_b32 v43, 8, v0
	ds_bpermute_b32 v45, v3, v31
	s_waitcnt lgkmcnt(4)
	v_dual_add_f32 v29, v29, v41 :: v_dual_add_f32 v10, v10, v48
	ds_bpermute_b32 v41, v3, v36
	v_cndmask_b32_e64 v36, -v36, v36, s5
	v_add_f32_e32 v25, v25, v47
	ds_bpermute_b32 v46, v3, v7
	v_cndmask_b32_e64 v31, -v31, v31, s5
	v_cndmask_b32_e64 v7, -v7, v7, s5
	ds_bpermute_b32 v47, v3, v37
	v_cndmask_b32_e64 v37, -v37, v37, s5
	ds_bpermute_b32 v48, v3, v17
	v_cndmask_b32_e64 v17, -v17, v17, s5
	s_waitcnt lgkmcnt(3)
	v_add_f32_e32 v36, v36, v41
	v_xor_b32_e32 v41, 8, v4
	s_delay_alu instid0(VALU_DEP_1) | instskip(NEXT) | instid1(VALU_DEP_1)
	v_cmp_gt_i32_e64 s6, 32, v41
	v_cndmask_b32_e64 v41, v4, v41, s6
	v_cmp_eq_u32_e64 s6, 0, v43
	s_delay_alu instid0(VALU_DEP_2)
	v_lshlrev_b32_e32 v41, 2, v41
	ds_bpermute_b32 v51, v41, v24
	v_cndmask_b32_e64 v24, -v24, v24, s6
	v_add_f32_e32 v13, v13, v49
	ds_bpermute_b32 v49, v41, v22
	v_cndmask_b32_e64 v22, -v22, v22, s6
	v_add_f32_e32 v5, v5, v42
	;; [unrolled: 3-line block ×4, first 2 shown]
	ds_bpermute_b32 v50, v3, v9
	v_cndmask_b32_e64 v9, -v9, v9, s5
	s_waitcnt lgkmcnt(4)
	v_add_f32_e32 v24, v24, v51
	s_waitcnt lgkmcnt(3)
	v_add_f32_e32 v22, v22, v49
	;; [unrolled: 2-line block ×3, first 2 shown]
	ds_bpermute_b32 v42, v41, v21
	v_cndmask_b32_e64 v21, -v21, v21, s6
	s_waitcnt lgkmcnt(2)
	v_add_f32_e32 v14, v14, v44
	ds_bpermute_b32 v44, v41, v20
	v_cndmask_b32_e64 v20, -v20, v20, s6
	v_add_f32_e32 v7, v7, v46
	ds_bpermute_b32 v46, v3, v18
	v_cndmask_b32_e64 v18, -v18, v18, s5
	;; [unrolled: 3-line block ×3, first 2 shown]
	s_waitcnt lgkmcnt(3)
	v_add_f32_e32 v21, v21, v42
	ds_bpermute_b32 v42, v41, v40
	s_waitcnt lgkmcnt(3)
	v_add_f32_e32 v20, v20, v44
	ds_bpermute_b32 v44, v41, v29
	v_cndmask_b32_e64 v29, -v29, v29, s6
	s_waitcnt lgkmcnt(2)
	v_dual_add_f32 v18, v18, v46 :: v_dual_add_f32 v15, v15, v45
	ds_bpermute_b32 v45, v41, v16
	v_cndmask_b32_e64 v16, -v16, v16, s6
	v_add_f32_e32 v37, v37, v47
	ds_bpermute_b32 v47, v3, v19
	v_cndmask_b32_e64 v19, -v19, v19, s5
	s_waitcnt lgkmcnt(1)
	v_dual_add_f32 v29, v29, v44 :: v_dual_add_f32 v16, v16, v45
	ds_bpermute_b32 v45, v41, v6
	v_cndmask_b32_e64 v6, -v6, v6, s6
	s_waitcnt lgkmcnt(0)
	s_delay_alu instid0(VALU_DEP_1) | instskip(SKIP_1) | instid1(VALU_DEP_1)
	v_add_f32_e32 v44, v6, v45
	v_cndmask_b32_e64 v6, -v40, v40, s6
	v_add_f32_e32 v42, v6, v42
	ds_bpermute_b32 v43, v41, v26
	v_cndmask_b32_e64 v26, -v26, v26, s6
	v_add_f32_e32 v9, v9, v50
	ds_bpermute_b32 v50, v41, v23
	v_cndmask_b32_e64 v23, -v23, v23, s6
	ds_bpermute_b32 v46, v41, v27
	ds_bpermute_b32 v49, v41, v30
	v_cndmask_b32_e64 v30, -v30, v30, s6
	v_add_f32_e32 v19, v19, v47
	ds_bpermute_b32 v47, v41, v28
	ds_bpermute_b32 v40, v41, v5
	v_cndmask_b32_e64 v5, -v5, v5, s6
	v_cndmask_b32_e64 v27, -v27, v27, s6
	v_cndmask_b32_e64 v28, -v28, v28, s6
	ds_bpermute_b32 v51, v41, v39
	v_cndmask_b32_e64 v6, -v36, v36, s6
	v_cndmask_b32_e64 v39, -v39, v39, s6
	s_waitcnt lgkmcnt(6)
	v_add_f32_e32 v26, v26, v43
	ds_bpermute_b32 v43, v41, v11
	s_waitcnt lgkmcnt(6)
	v_add_f32_e32 v23, v23, v50
	ds_bpermute_b32 v50, v41, v8
	v_cndmask_b32_e64 v8, -v8, v8, s6
	s_waitcnt lgkmcnt(6)
	v_add_f32_e32 v27, v27, v46
	ds_bpermute_b32 v46, v41, v31
	s_waitcnt lgkmcnt(6)
	v_add_f32_e32 v30, v30, v49
	s_waitcnt lgkmcnt(5)
	v_add_f32_e32 v28, v28, v47
	ds_bpermute_b32 v47, v41, v7
	v_cndmask_b32_e64 v7, -v7, v7, s6
	ds_bpermute_b32 v49, v41, v10
	s_waitcnt lgkmcnt(3)
	v_add_f32_e32 v45, v8, v50
	v_cndmask_b32_e64 v8, -v11, v11, s6
	v_cndmask_b32_e64 v11, -v31, v31, s6
	v_add_f32_e32 v17, v17, v48
	ds_bpermute_b32 v48, v41, v25
	ds_bpermute_b32 v31, v41, v36
	v_cndmask_b32_e64 v25, -v25, v25, s6
	s_waitcnt lgkmcnt(4)
	v_add_f32_e32 v46, v11, v46
	ds_bpermute_b32 v50, v41, v13
	s_waitcnt lgkmcnt(4)
	v_add_f32_e32 v47, v7, v47
	v_cndmask_b32_e64 v7, -v10, v10, s6
	ds_bpermute_b32 v10, v41, v14
	v_cndmask_b32_e64 v13, -v13, v13, s6
	v_add_f32_e32 v39, v39, v51
	ds_bpermute_b32 v51, v41, v9
	v_cndmask_b32_e64 v9, -v9, v9, s6
	v_add_f32_e32 v36, v5, v40
	s_waitcnt lgkmcnt(5)
	v_add_f32_e32 v40, v7, v49
	ds_bpermute_b32 v11, v41, v15
	v_cndmask_b32_e64 v5, -v38, v38, s6
	v_cndmask_b32_e64 v7, -v15, v15, s6
	ds_bpermute_b32 v15, v41, v19
	s_waitcnt lgkmcnt(5)
	v_add_f32_e32 v31, v6, v31
	v_cndmask_b32_e64 v6, -v14, v14, s6
	v_add_f32_e32 v25, v25, v48
	ds_bpermute_b32 v48, v41, v37
	v_cndmask_b32_e64 v37, -v37, v37, s6
	ds_bpermute_b32 v14, v41, v18
	s_waitcnt lgkmcnt(4)
	v_add_f32_e32 v49, v9, v51
	v_xor_b32_e32 v9, 16, v4
	s_waitcnt lgkmcnt(3)
	v_add_f32_e32 v51, v7, v11
	v_cndmask_b32_e64 v7, -v17, v17, s6
	s_delay_alu instid0(VALU_DEP_3) | instskip(NEXT) | instid1(VALU_DEP_1)
	v_cmp_gt_i32_e64 s7, 32, v9
	v_cndmask_b32_e64 v4, v4, v9, s7
	s_waitcnt lgkmcnt(1)
	v_add_f32_e32 v37, v37, v48
	v_add_f32_e32 v48, v13, v50
	ds_bpermute_b32 v13, v41, v12
	v_add_f32_e32 v43, v8, v43
	ds_bpermute_b32 v8, v41, v38
	ds_bpermute_b32 v38, v41, v17
	v_add_f32_e32 v50, v6, v10
	v_cndmask_b32_e64 v6, -v19, v19, s6
	s_waitcnt lgkmcnt(1)
	s_delay_alu instid0(VALU_DEP_1) | instskip(SKIP_4) | instid1(VALU_DEP_4)
	v_dual_add_f32 v54, v6, v15 :: v_dual_add_f32 v41, v5, v8
	v_cndmask_b32_e64 v5, -v12, v12, s6
	v_lshlrev_b32_e32 v12, 2, v4
	v_cndmask_b32_e64 v4, -v18, v18, s6
	v_and_b32_e32 v8, 16, v0
	v_add_f32_e32 v52, v5, v13
	ds_bpermute_b32 v18, v12, v24
	ds_bpermute_b32 v9, v12, v20
	;; [unrolled: 1-line block ×3, first 2 shown]
	v_cmp_eq_u32_e64 s6, 0, v8
	ds_bpermute_b32 v10, v12, v16
	ds_bpermute_b32 v13, v12, v21
	;; [unrolled: 1-line block ×4, first 2 shown]
	v_cndmask_b32_e64 v5, -v16, v16, s6
	ds_bpermute_b32 v16, v12, v28
	v_cndmask_b32_e64 v6, -v22, v22, s6
	v_cndmask_b32_e64 v8, -v24, v24, s6
	ds_bpermute_b32 v22, v12, v30
	ds_bpermute_b32 v15, v12, v27
	;; [unrolled: 1-line block ×3, first 2 shown]
	s_waitcnt lgkmcnt(10)
	v_add_f32_e32 v8, v8, v18
	v_cndmask_b32_e64 v18, -v25, v25, s6
	ds_bpermute_b32 v25, v12, v42
	v_add_f32_e32 v55, v7, v38
	v_cndmask_b32_e64 v7, -v23, v23, s6
	ds_bpermute_b32 v23, v12, v45
	;; [unrolled: 3-line block ×3, first 2 shown]
	ds_bpermute_b32 v38, v12, v36
	s_waitcnt lgkmcnt(12)
	v_add_f32_e32 v7, v7, v17
	v_cndmask_b32_e64 v17, -v28, v28, s6
	v_add_f32_e32 v4, v4, v9
	v_cndmask_b32_e64 v9, -v21, v21, s6
	s_waitcnt lgkmcnt(9)
	v_add_f32_e32 v6, v6, v11
	v_cndmask_b32_e64 v11, -v27, v27, s6
	ds_bpermute_b32 v27, v12, v46
	ds_bpermute_b32 v20, v12, v29
	v_add_f32_e32 v9, v9, v13
	s_waitcnt lgkmcnt(9)
	v_add_f32_e32 v13, v17, v16
	v_cndmask_b32_e64 v17, -v30, v30, s6
	ds_bpermute_b32 v21, v12, v44
	ds_bpermute_b32 v30, v12, v31
	;; [unrolled: 1-line block ×3, first 2 shown]
	v_cndmask_b32_e64 v16, -v44, v44, s6
	s_waitcnt lgkmcnt(11)
	v_add_f32_e32 v17, v17, v22
	v_cndmask_b32_e64 v22, -v46, v46, s6
	v_add_f32_e32 v5, v5, v10
	v_cndmask_b32_e64 v10, -v26, v26, s6
	ds_bpermute_b32 v26, v12, v43
	s_waitcnt lgkmcnt(7)
	v_add_f32_e32 v10, v10, v14
	v_add_f32_e32 v14, v18, v19
	v_cndmask_b32_e64 v19, -v39, v39, s6
	s_waitcnt lgkmcnt(5)
	v_add_f32_e32 v22, v22, v27
	v_cndmask_b32_e64 v18, -v45, v45, s6
	ds_bpermute_b32 v45, v12, v54
	ds_bpermute_b32 v39, v12, v40
	v_add_f32_e32 v19, v19, v24
	v_cndmask_b32_e64 v24, -v37, v37, s6
	v_add_f32_e32 v11, v11, v15
	v_cndmask_b32_e64 v15, -v29, v29, s6
	ds_bpermute_b32 v29, v12, v37
	ds_bpermute_b32 v37, v12, v48
	s_waitcnt lgkmcnt(7)
	v_add_f32_e32 v16, v16, v21
	v_dual_add_f32 v18, v18, v23 :: v_dual_add_f32 v15, v15, v20
	v_cndmask_b32_e64 v20, -v42, v42, s6
	ds_bpermute_b32 v42, v12, v49
	v_cndmask_b32_e64 v21, -v43, v43, s6
	ds_bpermute_b32 v44, v12, v53
	v_cndmask_b32_e64 v23, -v47, v47, s6
	v_add_f32_e32 v20, v20, v25
	v_cndmask_b32_e64 v25, -v31, v31, s6
	ds_bpermute_b32 v31, v12, v50
	s_waitcnt lgkmcnt(7)
	v_add_f32_e32 v21, v21, v26
	v_cndmask_b32_e64 v26, -v36, v36, s6
	v_add_f32_e32 v23, v23, v28
	v_add_f32_e32 v25, v25, v30
	v_cndmask_b32_e64 v30, -v49, v49, s6
	v_cndmask_b32_e64 v28, -v48, v48, s6
	v_add_f32_e32 v26, v26, v38
	s_waitcnt lgkmcnt(4)
	v_add_f32_e32 v24, v24, v29
	ds_bpermute_b32 v29, v12, v41
	v_cndmask_b32_e64 v38, -v41, v41, s6
	v_cndmask_b32_e64 v27, -v40, v40, s6
	ds_bpermute_b32 v40, v12, v52
	ds_bpermute_b32 v43, v12, v51
	s_waitcnt lgkmcnt(5)
	v_add_f32_e32 v36, v30, v42
	v_cndmask_b32_e64 v30, -v50, v50, s6
	ds_bpermute_b32 v12, v12, v55
	v_add_f32_e32 v28, v28, v37
	v_cndmask_b32_e64 v41, -v53, v53, s6
	s_waitcnt lgkmcnt(5)
	s_delay_alu instid0(VALU_DEP_1)
	v_add_f32_e32 v41, v41, v44
	s_waitcnt lgkmcnt(3)
	v_dual_add_f32 v37, v38, v29 :: v_dual_and_b32 v44, 7, v0
	v_add_f32_e32 v38, v30, v31
	v_lshrrev_b32_e32 v30, 5, v0
	v_cndmask_b32_e64 v29, -v52, v52, s6
	v_add_f32_e32 v27, v27, v39
	v_cndmask_b32_e64 v39, -v51, v51, s6
	v_cndmask_b32_e64 v31, -v55, v55, s6
	v_xor_b32_e32 v30, v30, v0
	s_waitcnt lgkmcnt(2)
	v_add_f32_e32 v40, v29, v40
	v_lshrrev_b32_e32 v0, 3, v0
	v_cndmask_b32_e64 v29, -v54, v54, s6
	s_waitcnt lgkmcnt(1)
	v_add_f32_e32 v39, v39, v43
	s_waitcnt lgkmcnt(0)
	v_add_f32_e32 v43, v31, v12
	v_lshl_add_u32 v12, v30, 4, 0
	v_lshl_or_b32 v0, v44, 5, v0
	v_add_f32_e32 v42, v29, v45
	ds_store_b128 v12, v[4:7]
	ds_store_b128 v12, v[8:11] offset:4096
	v_xor_b32_e32 v0, v0, v44
	ds_store_b128 v12, v[13:16] offset:8192
	ds_store_b128 v12, v[17:20] offset:12288
	;; [unrolled: 1-line block ×6, first 2 shown]
	s_waitcnt lgkmcnt(0)
	s_barrier
	v_lshl_add_u32 v0, v0, 4, 0
	buffer_gl0_inv
	ds_load_b128 v[4:7], v0
	ds_load_b128 v[8:11], v0 offset:4096
	ds_load_b128 v[13:16], v0 offset:8192
	;; [unrolled: 1-line block ×7, first 2 shown]
	s_waitcnt lgkmcnt(0)
	s_barrier
	buffer_gl0_inv
	ds_bpermute_b32 v29, v1, v4
	ds_bpermute_b32 v44, v1, v7
	;; [unrolled: 1-line block ×6, first 2 shown]
	v_cndmask_b32_e64 v4, -v4, v4, s1
	v_cndmask_b32_e64 v7, -v7, v7, s1
	;; [unrolled: 1-line block ×3, first 2 shown]
	ds_bpermute_b32 v45, v1, v8
	v_cndmask_b32_e64 v5, -v5, v5, s1
	v_cndmask_b32_e64 v9, -v9, v9, s1
	;; [unrolled: 1-line block ×3, first 2 shown]
	ds_bpermute_b32 v31, v1, v6
	v_cndmask_b32_e64 v8, -v8, v8, s1
	v_cndmask_b32_e64 v6, -v6, v6, s1
	ds_bpermute_b32 v50, v1, v15
	ds_bpermute_b32 v48, v1, v13
	v_cndmask_b32_e64 v15, -v15, v15, s1
	v_cndmask_b32_e64 v13, -v13, v13, s1
	s_waitcnt lgkmcnt(9)
	v_add_f32_e32 v4, v4, v29
	ds_bpermute_b32 v29, v1, v10
	s_waitcnt lgkmcnt(8)
	v_add_f32_e32 v11, v11, v47
	ds_bpermute_b32 v47, v1, v22
	v_cndmask_b32_e64 v22, -v22, v22, s1
	v_add_f32_e32 v7, v7, v44
	ds_bpermute_b32 v44, v1, v18
	s_waitcnt lgkmcnt(7)
	v_add_f32_e32 v14, v14, v49
	v_cndmask_b32_e64 v18, -v18, v18, s1
	v_add_f32_e32 v5, v5, v30
	ds_bpermute_b32 v30, v1, v16
	ds_bpermute_b32 v49, v1, v24
	v_cndmask_b32_e64 v24, -v24, v24, s1
	v_add_f32_e32 v9, v9, v46
	ds_bpermute_b32 v46, v1, v20
	v_cndmask_b32_e64 v10, -v10, v10, s1
	s_waitcnt lgkmcnt(9)
	v_add_f32_e32 v8, v8, v45
	ds_bpermute_b32 v45, v1, v19
	v_cndmask_b32_e64 v16, -v16, v16, s1
	v_cndmask_b32_e64 v20, -v20, v20, s1
	s_waitcnt lgkmcnt(9)
	v_add_f32_e32 v6, v6, v31
	s_waitcnt lgkmcnt(6)
	v_add_f32_e32 v10, v10, v29
	ds_bpermute_b32 v29, v1, v21
	ds_bpermute_b32 v31, v1, v17
	v_cndmask_b32_e64 v19, -v19, v19, s1
	v_cndmask_b32_e64 v21, -v21, v21, s1
	s_waitcnt lgkmcnt(6)
	v_add_f32_e32 v18, v18, v44
	ds_bpermute_b32 v44, v1, v28
	v_cndmask_b32_e64 v28, -v28, v28, s1
	v_add_f32_e32 v15, v15, v50
	s_waitcnt lgkmcnt(6)
	v_add_f32_e32 v16, v16, v30
	ds_bpermute_b32 v30, v1, v26
	v_cndmask_b32_e64 v17, -v17, v17, s1
	v_add_f32_e32 v22, v22, v47
	s_waitcnt lgkmcnt(5)
	v_add_f32_e32 v20, v20, v46
	ds_bpermute_b32 v46, v1, v37
	v_cndmask_b32_e64 v26, -v26, v26, s1
	ds_bpermute_b32 v47, v1, v39
	s_waitcnt lgkmcnt(6)
	v_add_f32_e32 v19, v19, v45
	ds_bpermute_b32 v45, v1, v36
	ds_bpermute_b32 v50, v1, v25
	v_add_f32_e32 v24, v24, v49
	ds_bpermute_b32 v49, v1, v41
	v_cndmask_b32_e64 v25, -v25, v25, s1
	s_waitcnt lgkmcnt(6)
	v_add_f32_e32 v28, v28, v44
	ds_bpermute_b32 v44, v2, v6
	v_cndmask_b32_e64 v6, -v6, v6, s4
	v_add_f32_e32 v21, v21, v29
	v_cndmask_b32_e64 v29, -v36, v36, s1
	v_cndmask_b32_e64 v36, -v37, v37, s1
	v_add_f32_e32 v13, v13, v48
	ds_bpermute_b32 v48, v1, v23
	s_waitcnt lgkmcnt(7)
	v_add_f32_e32 v26, v26, v30
	v_cndmask_b32_e64 v23, -v23, v23, s1
	s_waitcnt lgkmcnt(6)
	v_add_f32_e32 v30, v36, v46
	v_cndmask_b32_e64 v36, -v39, v39, s1
	v_cndmask_b32_e64 v39, -v41, v41, s1
	v_add_f32_e32 v17, v17, v31
	ds_bpermute_b32 v31, v1, v27
	v_cndmask_b32_e64 v27, -v27, v27, s1
	s_waitcnt lgkmcnt(4)
	v_add_f32_e32 v25, v25, v50
	ds_bpermute_b32 v37, v1, v38
	ds_bpermute_b32 v50, v1, v42
	;; [unrolled: 1-line block ×3, first 2 shown]
	v_cndmask_b32_e64 v4, -v4, v4, s4
	v_add_f32_e32 v36, v36, v47
	ds_bpermute_b32 v46, v2, v9
	ds_bpermute_b32 v47, v2, v10
	v_cndmask_b32_e64 v10, -v10, v10, s4
	v_add_f32_e32 v29, v29, v45
	ds_bpermute_b32 v45, v2, v7
	s_waitcnt lgkmcnt(7)
	v_add_f32_e32 v23, v23, v48
	ds_bpermute_b32 v48, v1, v40
	v_cndmask_b32_e64 v7, -v7, v7, s4
	v_cndmask_b32_e64 v9, -v9, v9, s4
	ds_bpermute_b32 v1, v1, v43
	s_waitcnt lgkmcnt(8)
	v_dual_add_f32 v6, v6, v44 :: v_dual_add_f32 v27, v27, v31
	v_cndmask_b32_e64 v31, -v38, v38, s1
	v_cndmask_b32_e64 v38, -v40, v40, s1
	;; [unrolled: 1-line block ×3, first 2 shown]
	ds_bpermute_b32 v42, v2, v5
	v_cndmask_b32_e64 v5, -v5, v5, s4
	s_waitcnt lgkmcnt(6)
	v_add_f32_e32 v4, v4, v41
	ds_bpermute_b32 v41, v2, v15
	s_waitcnt lgkmcnt(6)
	v_add_f32_e32 v9, v9, v46
	ds_bpermute_b32 v46, v2, v20
	v_cndmask_b32_e64 v20, -v20, v20, s4
	s_waitcnt lgkmcnt(6)
	v_add_f32_e32 v10, v10, v47
	ds_bpermute_b32 v47, v2, v21
	v_cndmask_b32_e64 v15, -v15, v15, s4
	v_cndmask_b32_e64 v21, -v21, v21, s4
	s_waitcnt lgkmcnt(3)
	v_add_f32_e32 v5, v5, v42
	ds_bpermute_b32 v42, v2, v16
	v_cndmask_b32_e64 v16, -v16, v16, s4
	v_add_f32_e32 v31, v31, v37
	s_waitcnt lgkmcnt(2)
	v_dual_add_f32 v37, v38, v48 :: v_dual_add_f32 v20, v20, v46
	v_add_f32_e32 v38, v39, v49
	ds_bpermute_b32 v48, v2, v11
	v_cndmask_b32_e64 v11, -v11, v11, s4
	ds_bpermute_b32 v46, v2, v30
	v_cndmask_b32_e64 v30, -v30, v30, s4
	;; [unrolled: 2-line block ×4, first 2 shown]
	s_waitcnt lgkmcnt(4)
	v_add_f32_e32 v16, v16, v42
	ds_bpermute_b32 v42, v2, v26
	v_cndmask_b32_e64 v26, -v26, v26, s4
	v_add_f32_e32 v7, v7, v45
	ds_bpermute_b32 v45, v2, v18
	v_cndmask_b32_e64 v18, -v18, v18, s4
	v_add_f32_e32 v39, v40, v50
	v_cndmask_b32_e64 v40, -v43, v43, s1
	ds_bpermute_b32 v43, v2, v8
	v_cndmask_b32_e64 v8, -v8, v8, s4
	s_waitcnt lgkmcnt(5)
	v_dual_add_f32 v11, v11, v48 :: v_dual_add_f32 v30, v30, v46
	ds_bpermute_b32 v48, v2, v22
	v_cndmask_b32_e64 v22, -v22, v22, s4
	v_add_f32_e32 v1, v40, v1
	ds_bpermute_b32 v40, v2, v14
	v_cndmask_b32_e64 v14, -v14, v14, s4
	s_waitcnt lgkmcnt(4)
	v_add_f32_e32 v26, v26, v42
	ds_bpermute_b32 v42, v3, v4
	v_cndmask_b32_e64 v4, -v4, v4, s5
	v_add_f32_e32 v15, v15, v41
	s_waitcnt lgkmcnt(4)
	v_add_f32_e32 v18, v18, v45
	ds_bpermute_b32 v45, v2, v28
	v_cndmask_b32_e64 v28, -v28, v28, s4
	s_waitcnt lgkmcnt(4)
	v_add_f32_e32 v8, v8, v43
	ds_bpermute_b32 v43, v2, v19
	v_cndmask_b32_e64 v19, -v19, v19, s4
	ds_bpermute_b32 v41, v2, v25
	s_waitcnt lgkmcnt(5)
	v_add_f32_e32 v22, v22, v48
	ds_bpermute_b32 v48, v2, v36
	ds_bpermute_b32 v46, v3, v8
	s_waitcnt lgkmcnt(6)
	v_add_f32_e32 v14, v14, v40
	ds_bpermute_b32 v40, v2, v24
	v_cndmask_b32_e64 v8, -v8, v8, s5
	v_cndmask_b32_e64 v24, -v24, v24, s4
	;; [unrolled: 1-line block ×4, first 2 shown]
	s_waitcnt lgkmcnt(6)
	v_add_f32_e32 v4, v4, v42
	ds_bpermute_b32 v42, v3, v14
	v_cndmask_b32_e64 v14, -v14, v14, s5
	s_waitcnt lgkmcnt(5)
	v_dual_add_f32 v28, v28, v45 :: v_dual_add_f32 v19, v19, v43
	ds_bpermute_b32 v43, v2, v29
	v_cndmask_b32_e64 v29, -v29, v29, s4
	s_waitcnt lgkmcnt(5)
	v_add_f32_e32 v25, v25, v41
	ds_bpermute_b32 v41, v2, v39
	s_waitcnt lgkmcnt(4)
	v_add_f32_e32 v8, v8, v46
	ds_bpermute_b32 v46, v3, v19
	;; [unrolled: 3-line block ×3, first 2 shown]
	v_cndmask_b32_e64 v19, -v19, v19, s5
	s_waitcnt lgkmcnt(4)
	v_add_f32_e32 v14, v14, v42
	ds_bpermute_b32 v42, v3, v24
	v_cndmask_b32_e64 v24, -v24, v24, s5
	s_waitcnt lgkmcnt(4)
	v_add_f32_e32 v29, v29, v43
	v_add_f32_e32 v43, v36, v48
	v_cndmask_b32_e64 v36, -v38, v38, s4
	v_add_f32_e32 v13, v13, v49
	ds_bpermute_b32 v49, v2, v23
	ds_bpermute_b32 v48, v3, v10
	v_cndmask_b32_e64 v10, -v10, v10, s5
	s_waitcnt lgkmcnt(3)
	v_dual_add_f32 v40, v36, v40 :: v_dual_add_f32 v21, v21, v47
	ds_bpermute_b32 v47, v2, v31
	v_cndmask_b32_e64 v23, -v23, v23, s4
	ds_bpermute_b32 v38, v3, v6
	v_add_f32_e32 v17, v17, v44
	ds_bpermute_b32 v44, v2, v27
	v_cndmask_b32_e64 v31, -v31, v31, s4
	ds_bpermute_b32 v36, v3, v11
	s_waitcnt lgkmcnt(6)
	v_add_f32_e32 v24, v24, v42
	v_add_f32_e32 v19, v19, v46
	v_cndmask_b32_e64 v27, -v27, v27, s4
	s_waitcnt lgkmcnt(5)
	v_add_f32_e32 v23, v23, v49
	ds_bpermute_b32 v49, v2, v37
	ds_bpermute_b32 v2, v2, v1
	s_waitcnt lgkmcnt(6)
	v_add_f32_e32 v10, v10, v48
	ds_bpermute_b32 v48, v3, v21
	s_waitcnt lgkmcnt(6)
	v_add_f32_e32 v31, v31, v47
	ds_bpermute_b32 v47, v3, v9
	v_cndmask_b32_e64 v1, -v1, v1, s4
	v_cndmask_b32_e64 v21, -v21, v21, s5
	v_cndmask_b32_e64 v37, -v37, v37, s4
	v_cndmask_b32_e64 v9, -v9, v9, s5
	s_waitcnt lgkmcnt(1)
	s_delay_alu instid0(VALU_DEP_3)
	v_add_f32_e32 v21, v21, v48
	ds_bpermute_b32 v48, v3, v31
	v_cndmask_b32_e64 v31, -v31, v31, s5
	v_add_f32_e32 v1, v1, v2
	v_cndmask_b32_e64 v2, -v6, v6, s5
	s_waitcnt lgkmcnt(1)
	v_add_f32_e32 v9, v9, v47
	ds_bpermute_b32 v47, v3, v20
	v_cndmask_b32_e64 v20, -v20, v20, s5
	v_dual_add_f32 v45, v37, v49 :: v_dual_add_f32 v6, v2, v38
	v_cndmask_b32_e64 v2, -v11, v11, s5
	ds_bpermute_b32 v38, v3, v17
	v_cndmask_b32_e64 v37, -v39, v39, s4
	ds_bpermute_b32 v39, v3, v7
	v_cndmask_b32_e64 v7, -v7, v7, s5
	v_add_f32_e32 v11, v2, v36
	ds_bpermute_b32 v36, v3, v22
	v_cndmask_b32_e64 v2, -v17, v17, s5
	ds_bpermute_b32 v49, v3, v16
	v_cndmask_b32_e64 v16, -v16, v16, s5
	v_add_f32_e32 v27, v27, v44
	ds_bpermute_b32 v44, v3, v5
	v_cndmask_b32_e64 v5, -v5, v5, s5
	s_waitcnt lgkmcnt(5)
	v_add_f32_e32 v20, v20, v47
	ds_bpermute_b32 v47, v3, v30
	v_cndmask_b32_e64 v30, -v30, v30, s5
	ds_bpermute_b32 v42, v3, v45
	s_waitcnt lgkmcnt(6)
	v_add_f32_e32 v17, v2, v38
	v_cndmask_b32_e64 v2, -v22, v22, s5
	s_waitcnt lgkmcnt(4)
	s_delay_alu instid0(VALU_DEP_1)
	v_add_f32_e32 v22, v2, v36
	s_waitcnt lgkmcnt(3)
	v_add_f32_e32 v16, v16, v49
	ds_bpermute_b32 v46, v3, v29
	v_cndmask_b32_e64 v29, -v29, v29, s5
	v_add_f32_e32 v7, v7, v39
	ds_bpermute_b32 v39, v3, v18
	v_cndmask_b32_e64 v18, -v18, v18, s5
	ds_bpermute_b32 v49, v3, v26
	ds_bpermute_b32 v38, v3, v27
	v_cndmask_b32_e64 v26, -v26, v26, s5
	v_cndmask_b32_e64 v27, -v27, v27, s5
	s_waitcnt lgkmcnt(3)
	v_add_f32_e32 v36, v29, v46
	s_waitcnt lgkmcnt(2)
	v_add_f32_e32 v18, v18, v39
	ds_bpermute_b32 v39, v3, v28
	v_cndmask_b32_e64 v28, -v28, v28, s5
	v_add_f32_e32 v41, v37, v41
	ds_bpermute_b32 v37, v3, v13
	v_cndmask_b32_e64 v13, -v13, v13, s5
	s_waitcnt lgkmcnt(3)
	v_add_f32_e32 v26, v26, v49
	ds_bpermute_b32 v2, v3, v43
	s_waitcnt lgkmcnt(3)
	v_add_f32_e32 v27, v27, v38
	v_add_f32_e32 v38, v31, v48
	v_cndmask_b32_e64 v29, -v43, v43, s5
	v_cndmask_b32_e64 v31, -v40, v40, s5
	s_waitcnt lgkmcnt(2)
	v_add_f32_e32 v28, v28, v39
	ds_bpermute_b32 v49, v3, v41
	v_cndmask_b32_e64 v43, -v41, v41, s5
	s_waitcnt lgkmcnt(2)
	v_add_f32_e32 v13, v13, v37
	ds_bpermute_b32 v37, v3, v23
	v_cndmask_b32_e64 v23, -v23, v23, s5
	s_waitcnt lgkmcnt(2)
	v_add_f32_e32 v39, v29, v2
	s_waitcnt lgkmcnt(0)
	s_delay_alu instid0(VALU_DEP_2)
	v_add_f32_e32 v23, v23, v37
	v_add_f32_e32 v37, v30, v47
	v_cndmask_b32_e64 v30, -v45, v45, s5
	v_add_f32_e32 v5, v5, v44
	ds_bpermute_b32 v44, v3, v15
	v_cndmask_b32_e64 v15, -v15, v15, s5
	s_waitcnt lgkmcnt(0)
	s_delay_alu instid0(VALU_DEP_1) | instskip(SKIP_3) | instid1(VALU_DEP_1)
	v_add_f32_e32 v15, v15, v44
	ds_bpermute_b32 v44, v3, v25
	v_cndmask_b32_e64 v25, -v25, v25, s5
	s_waitcnt lgkmcnt(0)
	v_add_f32_e32 v25, v25, v44
	ds_bpermute_b32 v44, v3, v40
	ds_bpermute_b32 v3, v3, v1
	v_cndmask_b32_e64 v1, -v1, v1, s5
	v_add_f32_e32 v40, v30, v42
	v_add_f32_e32 v42, v43, v49
	s_waitcnt lgkmcnt(1)
	v_add_f32_e32 v41, v31, v44
	s_waitcnt lgkmcnt(0)
	v_add_f32_e32 v43, v1, v3
	ds_store_b128 v0, v[4:7]
	ds_store_b128 v0, v[8:11] offset:4096
	ds_store_b128 v0, v[13:16] offset:8192
	;; [unrolled: 1-line block ×7, first 2 shown]
	s_waitcnt lgkmcnt(0)
	s_barrier
	buffer_gl0_inv
	ds_load_b128 v[16:19], v12 offset:8192
	ds_load_b128 v[20:23], v12 offset:16384
	ds_load_b128 v[24:27], v12
	ds_load_b128 v[28:31], v12 offset:24576
	ds_load_b128 v[0:3], v12 offset:4096
	;; [unrolled: 1-line block ×5, first 2 shown]
	s_waitcnt lgkmcnt(5)
	v_add_f32_e32 v44, v24, v16
	s_waitcnt lgkmcnt(4)
	v_add_f32_e32 v45, v20, v28
	s_delay_alu instid0(VALU_DEP_1) | instskip(NEXT) | instid1(VALU_DEP_1)
	v_add_f32_e32 v36, v44, v45
	v_mul_f32_e32 v37, s8, v36
	s_delay_alu instid0(VALU_DEP_1) | instskip(NEXT) | instid1(VALU_DEP_1)
	v_and_b32_e32 v36, 0x7f800000, v37
	v_cmp_ne_u32_e64 s1, 0x7f800000, v36
                                        ; implicit-def: $vgpr36
	s_delay_alu instid0(VALU_DEP_1) | instskip(NEXT) | instid1(SALU_CYCLE_1)
	s_and_saveexec_b32 s4, s1
	s_xor_b32 s1, exec_lo, s4
; %bb.9:
	v_bfe_u32 v36, v37, 16, 1
	s_delay_alu instid0(VALU_DEP_1)
	v_add3_u32 v36, v37, v36, 0x7fff
                                        ; implicit-def: $vgpr37
; %bb.10:
	s_and_not1_saveexec_b32 s4, s1
; %bb.11:
	v_and_b32_e32 v36, 0xffff, v37
	v_or_b32_e32 v38, 0x10000, v37
	s_delay_alu instid0(VALU_DEP_2) | instskip(NEXT) | instid1(VALU_DEP_1)
	v_cmp_eq_u32_e64 s1, 0, v36
	v_cndmask_b32_e64 v36, v38, v37, s1
; %bb.12:
	s_or_b32 exec_lo, exec_lo, s4
	v_add_f32_e32 v46, v25, v17
	v_add_f32_e32 v47, v21, v29
	s_delay_alu instid0(VALU_DEP_1) | instskip(NEXT) | instid1(VALU_DEP_1)
	v_add_f32_e32 v37, v46, v47
	v_mul_f32_e32 v38, s8, v37
	s_delay_alu instid0(VALU_DEP_1) | instskip(NEXT) | instid1(VALU_DEP_1)
	v_and_b32_e32 v37, 0x7f800000, v38
	v_cmp_ne_u32_e64 s1, 0x7f800000, v37
                                        ; implicit-def: $vgpr37
	s_delay_alu instid0(VALU_DEP_1) | instskip(NEXT) | instid1(SALU_CYCLE_1)
	s_and_saveexec_b32 s4, s1
	s_xor_b32 s1, exec_lo, s4
; %bb.13:
	v_bfe_u32 v37, v38, 16, 1
	s_delay_alu instid0(VALU_DEP_1)
	v_add3_u32 v37, v38, v37, 0x7fff
                                        ; implicit-def: $vgpr38
; %bb.14:
	s_and_not1_saveexec_b32 s4, s1
; %bb.15:
	v_and_b32_e32 v37, 0xffff, v38
	v_or_b32_e32 v39, 0x10000, v38
	s_delay_alu instid0(VALU_DEP_2) | instskip(NEXT) | instid1(VALU_DEP_1)
	v_cmp_eq_u32_e64 s1, 0, v37
	v_cndmask_b32_e64 v37, v39, v38, s1
; %bb.16:
	s_or_b32 exec_lo, exec_lo, s4
	v_add_f32_e32 v48, v26, v18
	v_add_f32_e32 v49, v22, v30
	s_delay_alu instid0(VALU_DEP_1) | instskip(NEXT) | instid1(VALU_DEP_1)
	v_add_f32_e32 v38, v48, v49
	v_mul_f32_e32 v39, s8, v38
	s_delay_alu instid0(VALU_DEP_1) | instskip(NEXT) | instid1(VALU_DEP_1)
	v_and_b32_e32 v38, 0x7f800000, v39
	v_cmp_ne_u32_e64 s1, 0x7f800000, v38
                                        ; implicit-def: $vgpr38
	s_delay_alu instid0(VALU_DEP_1) | instskip(NEXT) | instid1(SALU_CYCLE_1)
	s_and_saveexec_b32 s4, s1
	s_xor_b32 s1, exec_lo, s4
; %bb.17:
	v_bfe_u32 v38, v39, 16, 1
	s_delay_alu instid0(VALU_DEP_1)
	v_add3_u32 v38, v39, v38, 0x7fff
                                        ; implicit-def: $vgpr39
; %bb.18:
	s_and_not1_saveexec_b32 s4, s1
; %bb.19:
	v_and_b32_e32 v38, 0xffff, v39
	v_or_b32_e32 v40, 0x10000, v39
	s_delay_alu instid0(VALU_DEP_2) | instskip(NEXT) | instid1(VALU_DEP_1)
	v_cmp_eq_u32_e64 s1, 0, v38
	v_cndmask_b32_e64 v38, v40, v39, s1
; %bb.20:
	s_or_b32 exec_lo, exec_lo, s4
	v_add_f32_e32 v50, v27, v19
	v_add_f32_e32 v51, v23, v31
	s_delay_alu instid0(VALU_DEP_1) | instskip(NEXT) | instid1(VALU_DEP_1)
	v_add_f32_e32 v39, v50, v51
	v_mul_f32_e32 v40, s8, v39
	s_delay_alu instid0(VALU_DEP_1) | instskip(NEXT) | instid1(VALU_DEP_1)
	v_and_b32_e32 v39, 0x7f800000, v40
	v_cmp_ne_u32_e64 s1, 0x7f800000, v39
                                        ; implicit-def: $vgpr39
	s_delay_alu instid0(VALU_DEP_1) | instskip(NEXT) | instid1(SALU_CYCLE_1)
	s_and_saveexec_b32 s4, s1
	s_xor_b32 s1, exec_lo, s4
; %bb.21:
	v_bfe_u32 v39, v40, 16, 1
	s_delay_alu instid0(VALU_DEP_1)
	v_add3_u32 v39, v40, v39, 0x7fff
                                        ; implicit-def: $vgpr40
; %bb.22:
	s_and_not1_saveexec_b32 s4, s1
; %bb.23:
	v_and_b32_e32 v39, 0xffff, v40
	v_or_b32_e32 v41, 0x10000, v40
	s_delay_alu instid0(VALU_DEP_2) | instskip(NEXT) | instid1(VALU_DEP_1)
	v_cmp_eq_u32_e64 s1, 0, v39
	v_cndmask_b32_e64 v39, v41, v40, s1
; %bb.24:
	s_or_b32 exec_lo, exec_lo, s4
	s_waitcnt lgkmcnt(2)
	v_add_f32_e32 v52, v0, v4
	s_waitcnt lgkmcnt(0)
	v_add_f32_e32 v53, v8, v12
	s_delay_alu instid0(VALU_DEP_1) | instskip(NEXT) | instid1(VALU_DEP_1)
	v_add_f32_e32 v40, v52, v53
	v_mul_f32_e32 v41, s8, v40
	s_delay_alu instid0(VALU_DEP_1) | instskip(NEXT) | instid1(VALU_DEP_1)
	v_and_b32_e32 v40, 0x7f800000, v41
	v_cmp_ne_u32_e64 s1, 0x7f800000, v40
                                        ; implicit-def: $vgpr40
	s_delay_alu instid0(VALU_DEP_1) | instskip(NEXT) | instid1(SALU_CYCLE_1)
	s_and_saveexec_b32 s4, s1
	s_xor_b32 s1, exec_lo, s4
; %bb.25:
	v_bfe_u32 v40, v41, 16, 1
	s_delay_alu instid0(VALU_DEP_1)
	v_add3_u32 v40, v41, v40, 0x7fff
                                        ; implicit-def: $vgpr41
; %bb.26:
	s_and_not1_saveexec_b32 s4, s1
; %bb.27:
	v_and_b32_e32 v40, 0xffff, v41
	v_or_b32_e32 v42, 0x10000, v41
	s_delay_alu instid0(VALU_DEP_2) | instskip(NEXT) | instid1(VALU_DEP_1)
	v_cmp_eq_u32_e64 s1, 0, v40
	v_cndmask_b32_e64 v40, v42, v41, s1
; %bb.28:
	s_or_b32 exec_lo, exec_lo, s4
	v_add_f32_e32 v54, v1, v5
	v_add_f32_e32 v55, v9, v13
	s_delay_alu instid0(VALU_DEP_1) | instskip(NEXT) | instid1(VALU_DEP_1)
	v_add_f32_e32 v41, v54, v55
	v_mul_f32_e32 v42, s8, v41
	s_delay_alu instid0(VALU_DEP_1) | instskip(NEXT) | instid1(VALU_DEP_1)
	v_and_b32_e32 v41, 0x7f800000, v42
	v_cmp_ne_u32_e64 s1, 0x7f800000, v41
                                        ; implicit-def: $vgpr41
	s_delay_alu instid0(VALU_DEP_1) | instskip(NEXT) | instid1(SALU_CYCLE_1)
	s_and_saveexec_b32 s4, s1
	s_xor_b32 s1, exec_lo, s4
; %bb.29:
	v_bfe_u32 v41, v42, 16, 1
	s_delay_alu instid0(VALU_DEP_1)
	v_add3_u32 v41, v42, v41, 0x7fff
                                        ; implicit-def: $vgpr42
; %bb.30:
	s_and_not1_saveexec_b32 s4, s1
; %bb.31:
	v_and_b32_e32 v41, 0xffff, v42
	v_or_b32_e32 v43, 0x10000, v42
	s_delay_alu instid0(VALU_DEP_2) | instskip(NEXT) | instid1(VALU_DEP_1)
	v_cmp_eq_u32_e64 s1, 0, v41
	v_cndmask_b32_e64 v41, v43, v42, s1
; %bb.32:
	s_or_b32 exec_lo, exec_lo, s4
	v_add_f32_e32 v56, v2, v6
	v_add_f32_e32 v57, v10, v14
	s_delay_alu instid0(VALU_DEP_1) | instskip(NEXT) | instid1(VALU_DEP_1)
	v_add_f32_e32 v42, v56, v57
	v_mul_f32_e32 v43, s8, v42
	s_delay_alu instid0(VALU_DEP_1) | instskip(NEXT) | instid1(VALU_DEP_1)
	v_and_b32_e32 v42, 0x7f800000, v43
	v_cmp_ne_u32_e64 s1, 0x7f800000, v42
                                        ; implicit-def: $vgpr42
	s_delay_alu instid0(VALU_DEP_1) | instskip(NEXT) | instid1(SALU_CYCLE_1)
	s_and_saveexec_b32 s4, s1
	s_xor_b32 s1, exec_lo, s4
; %bb.33:
	v_bfe_u32 v42, v43, 16, 1
	s_delay_alu instid0(VALU_DEP_1)
	v_add3_u32 v42, v43, v42, 0x7fff
                                        ; implicit-def: $vgpr43
; %bb.34:
	s_and_not1_saveexec_b32 s4, s1
; %bb.35:
	v_and_b32_e32 v42, 0xffff, v43
	v_or_b32_e32 v58, 0x10000, v43
	s_delay_alu instid0(VALU_DEP_2) | instskip(NEXT) | instid1(VALU_DEP_1)
	v_cmp_eq_u32_e64 s1, 0, v42
	v_cndmask_b32_e64 v42, v58, v43, s1
; %bb.36:
	s_or_b32 exec_lo, exec_lo, s4
	v_add_f32_e32 v58, v3, v7
	v_add_f32_e32 v59, v11, v15
	s_delay_alu instid0(VALU_DEP_1) | instskip(NEXT) | instid1(VALU_DEP_1)
	v_add_f32_e32 v43, v58, v59
	v_mul_f32_e32 v60, s8, v43
	s_delay_alu instid0(VALU_DEP_1) | instskip(NEXT) | instid1(VALU_DEP_1)
	v_and_b32_e32 v43, 0x7f800000, v60
	v_cmp_ne_u32_e64 s1, 0x7f800000, v43
                                        ; implicit-def: $vgpr43
	s_delay_alu instid0(VALU_DEP_1) | instskip(NEXT) | instid1(SALU_CYCLE_1)
	s_and_saveexec_b32 s4, s1
	s_xor_b32 s1, exec_lo, s4
; %bb.37:
	v_bfe_u32 v43, v60, 16, 1
	s_delay_alu instid0(VALU_DEP_1)
	v_add3_u32 v43, v60, v43, 0x7fff
                                        ; implicit-def: $vgpr60
; %bb.38:
	s_and_not1_saveexec_b32 s4, s1
; %bb.39:
	v_and_b32_e32 v43, 0xffff, v60
	v_or_b32_e32 v61, 0x10000, v60
	s_delay_alu instid0(VALU_DEP_2) | instskip(NEXT) | instid1(VALU_DEP_1)
	v_cmp_eq_u32_e64 s1, 0, v43
	v_cndmask_b32_e64 v43, v61, v60, s1
; %bb.40:
	s_or_b32 exec_lo, exec_lo, s4
	v_sub_f32_e32 v24, v24, v16
	v_sub_f32_e32 v20, v20, v28
	s_delay_alu instid0(VALU_DEP_1) | instskip(NEXT) | instid1(VALU_DEP_1)
	v_add_f32_e32 v16, v24, v20
	v_mul_f32_e32 v28, s8, v16
	s_delay_alu instid0(VALU_DEP_1) | instskip(NEXT) | instid1(VALU_DEP_1)
	v_and_b32_e32 v16, 0x7f800000, v28
	v_cmp_ne_u32_e64 s1, 0x7f800000, v16
                                        ; implicit-def: $vgpr16
	s_delay_alu instid0(VALU_DEP_1) | instskip(NEXT) | instid1(SALU_CYCLE_1)
	s_and_saveexec_b32 s4, s1
	s_xor_b32 s1, exec_lo, s4
; %bb.41:
	v_bfe_u32 v16, v28, 16, 1
	s_delay_alu instid0(VALU_DEP_1)
	v_add3_u32 v16, v28, v16, 0x7fff
                                        ; implicit-def: $vgpr28
; %bb.42:
	s_and_not1_saveexec_b32 s4, s1
; %bb.43:
	v_and_b32_e32 v16, 0xffff, v28
	v_or_b32_e32 v60, 0x10000, v28
	s_delay_alu instid0(VALU_DEP_2) | instskip(NEXT) | instid1(VALU_DEP_1)
	v_cmp_eq_u32_e64 s1, 0, v16
	v_cndmask_b32_e64 v16, v60, v28, s1
; %bb.44:
	s_or_b32 exec_lo, exec_lo, s4
	v_sub_f32_e32 v25, v25, v17
	v_sub_f32_e32 v21, v21, v29
	s_delay_alu instid0(VALU_DEP_1) | instskip(NEXT) | instid1(VALU_DEP_1)
	v_add_f32_e32 v17, v25, v21
	v_mul_f32_e32 v28, s8, v17
	s_delay_alu instid0(VALU_DEP_1) | instskip(NEXT) | instid1(VALU_DEP_1)
	v_and_b32_e32 v17, 0x7f800000, v28
	v_cmp_ne_u32_e64 s1, 0x7f800000, v17
                                        ; implicit-def: $vgpr17
	s_delay_alu instid0(VALU_DEP_1) | instskip(NEXT) | instid1(SALU_CYCLE_1)
	s_and_saveexec_b32 s4, s1
	s_xor_b32 s1, exec_lo, s4
; %bb.45:
	v_bfe_u32 v17, v28, 16, 1
	s_delay_alu instid0(VALU_DEP_1)
	v_add3_u32 v17, v28, v17, 0x7fff
                                        ; implicit-def: $vgpr28
; %bb.46:
	s_and_not1_saveexec_b32 s4, s1
; %bb.47:
	v_and_b32_e32 v17, 0xffff, v28
	v_or_b32_e32 v29, 0x10000, v28
	s_delay_alu instid0(VALU_DEP_2) | instskip(NEXT) | instid1(VALU_DEP_1)
	v_cmp_eq_u32_e64 s1, 0, v17
	v_cndmask_b32_e64 v17, v29, v28, s1
; %bb.48:
	s_or_b32 exec_lo, exec_lo, s4
	v_sub_f32_e32 v26, v26, v18
	v_sub_f32_e32 v22, v22, v30
	s_delay_alu instid0(VALU_DEP_1) | instskip(NEXT) | instid1(VALU_DEP_1)
	v_add_f32_e32 v18, v26, v22
	v_mul_f32_e32 v28, s8, v18
	s_delay_alu instid0(VALU_DEP_1) | instskip(NEXT) | instid1(VALU_DEP_1)
	v_and_b32_e32 v18, 0x7f800000, v28
	v_cmp_ne_u32_e64 s1, 0x7f800000, v18
                                        ; implicit-def: $vgpr18
	s_delay_alu instid0(VALU_DEP_1) | instskip(NEXT) | instid1(SALU_CYCLE_1)
	s_and_saveexec_b32 s4, s1
	s_xor_b32 s1, exec_lo, s4
; %bb.49:
	v_bfe_u32 v18, v28, 16, 1
	s_delay_alu instid0(VALU_DEP_1)
	v_add3_u32 v18, v28, v18, 0x7fff
                                        ; implicit-def: $vgpr28
; %bb.50:
	s_and_not1_saveexec_b32 s4, s1
; %bb.51:
	v_and_b32_e32 v18, 0xffff, v28
	v_or_b32_e32 v29, 0x10000, v28
	s_delay_alu instid0(VALU_DEP_2) | instskip(NEXT) | instid1(VALU_DEP_1)
	v_cmp_eq_u32_e64 s1, 0, v18
	v_cndmask_b32_e64 v18, v29, v28, s1
; %bb.52:
	s_or_b32 exec_lo, exec_lo, s4
	v_sub_f32_e32 v27, v27, v19
	v_sub_f32_e32 v23, v23, v31
	s_delay_alu instid0(VALU_DEP_1) | instskip(NEXT) | instid1(VALU_DEP_1)
	v_add_f32_e32 v19, v27, v23
	v_mul_f32_e32 v28, s8, v19
	s_delay_alu instid0(VALU_DEP_1) | instskip(NEXT) | instid1(VALU_DEP_1)
	v_and_b32_e32 v19, 0x7f800000, v28
	v_cmp_ne_u32_e64 s1, 0x7f800000, v19
                                        ; implicit-def: $vgpr19
	s_delay_alu instid0(VALU_DEP_1) | instskip(NEXT) | instid1(SALU_CYCLE_1)
	s_and_saveexec_b32 s4, s1
	s_xor_b32 s1, exec_lo, s4
; %bb.53:
	v_bfe_u32 v19, v28, 16, 1
	s_delay_alu instid0(VALU_DEP_1)
	v_add3_u32 v19, v28, v19, 0x7fff
                                        ; implicit-def: $vgpr28
; %bb.54:
	s_and_not1_saveexec_b32 s4, s1
; %bb.55:
	v_and_b32_e32 v19, 0xffff, v28
	v_or_b32_e32 v29, 0x10000, v28
	s_delay_alu instid0(VALU_DEP_2) | instskip(NEXT) | instid1(VALU_DEP_1)
	v_cmp_eq_u32_e64 s1, 0, v19
	v_cndmask_b32_e64 v19, v29, v28, s1
; %bb.56:
	s_or_b32 exec_lo, exec_lo, s4
	v_sub_f32_e32 v28, v0, v4
	v_sub_f32_e32 v8, v8, v12
	s_delay_alu instid0(VALU_DEP_1) | instskip(NEXT) | instid1(VALU_DEP_1)
	v_add_f32_e32 v0, v28, v8
	v_mul_f32_e32 v4, s8, v0
	s_delay_alu instid0(VALU_DEP_1) | instskip(NEXT) | instid1(VALU_DEP_1)
	v_and_b32_e32 v0, 0x7f800000, v4
	v_cmp_ne_u32_e64 s1, 0x7f800000, v0
                                        ; implicit-def: $vgpr0
	s_delay_alu instid0(VALU_DEP_1) | instskip(NEXT) | instid1(SALU_CYCLE_1)
	s_and_saveexec_b32 s4, s1
	s_xor_b32 s1, exec_lo, s4
; %bb.57:
	v_bfe_u32 v0, v4, 16, 1
	s_delay_alu instid0(VALU_DEP_1)
	v_add3_u32 v0, v4, v0, 0x7fff
                                        ; implicit-def: $vgpr4
; %bb.58:
	s_and_not1_saveexec_b32 s4, s1
; %bb.59:
	v_and_b32_e32 v0, 0xffff, v4
	v_or_b32_e32 v12, 0x10000, v4
	s_delay_alu instid0(VALU_DEP_2) | instskip(NEXT) | instid1(VALU_DEP_1)
	v_cmp_eq_u32_e64 s1, 0, v0
	v_cndmask_b32_e64 v0, v12, v4, s1
; %bb.60:
	s_or_b32 exec_lo, exec_lo, s4
	v_sub_f32_e32 v12, v1, v5
	v_sub_f32_e32 v9, v9, v13
	s_delay_alu instid0(VALU_DEP_1) | instskip(NEXT) | instid1(VALU_DEP_1)
	v_add_f32_e32 v1, v12, v9
	v_mul_f32_e32 v4, s8, v1
	s_delay_alu instid0(VALU_DEP_1) | instskip(NEXT) | instid1(VALU_DEP_1)
	v_and_b32_e32 v1, 0x7f800000, v4
	v_cmp_ne_u32_e64 s1, 0x7f800000, v1
                                        ; implicit-def: $vgpr1
	s_delay_alu instid0(VALU_DEP_1) | instskip(NEXT) | instid1(SALU_CYCLE_1)
	s_and_saveexec_b32 s4, s1
	s_xor_b32 s1, exec_lo, s4
; %bb.61:
	v_bfe_u32 v1, v4, 16, 1
	s_delay_alu instid0(VALU_DEP_1)
	v_add3_u32 v1, v4, v1, 0x7fff
                                        ; implicit-def: $vgpr4
; %bb.62:
	s_and_not1_saveexec_b32 s4, s1
; %bb.63:
	v_and_b32_e32 v1, 0xffff, v4
	v_or_b32_e32 v5, 0x10000, v4
	s_delay_alu instid0(VALU_DEP_2) | instskip(NEXT) | instid1(VALU_DEP_1)
	v_cmp_eq_u32_e64 s1, 0, v1
	v_cndmask_b32_e64 v1, v5, v4, s1
; %bb.64:
	s_or_b32 exec_lo, exec_lo, s4
	v_sub_f32_e32 v6, v2, v6
	v_sub_f32_e32 v10, v10, v14
	s_delay_alu instid0(VALU_DEP_1) | instskip(NEXT) | instid1(VALU_DEP_1)
	v_add_f32_e32 v2, v6, v10
	v_mul_f32_e32 v4, s8, v2
	s_delay_alu instid0(VALU_DEP_1) | instskip(NEXT) | instid1(VALU_DEP_1)
	v_and_b32_e32 v2, 0x7f800000, v4
	v_cmp_ne_u32_e64 s1, 0x7f800000, v2
                                        ; implicit-def: $vgpr2
	s_delay_alu instid0(VALU_DEP_1) | instskip(NEXT) | instid1(SALU_CYCLE_1)
	s_and_saveexec_b32 s4, s1
	s_xor_b32 s1, exec_lo, s4
; %bb.65:
	v_bfe_u32 v2, v4, 16, 1
	s_delay_alu instid0(VALU_DEP_1)
	v_add3_u32 v2, v4, v2, 0x7fff
                                        ; implicit-def: $vgpr4
; %bb.66:
	s_and_not1_saveexec_b32 s4, s1
; %bb.67:
	v_and_b32_e32 v2, 0xffff, v4
	v_or_b32_e32 v5, 0x10000, v4
	s_delay_alu instid0(VALU_DEP_2) | instskip(NEXT) | instid1(VALU_DEP_1)
	v_cmp_eq_u32_e64 s1, 0, v2
	v_cndmask_b32_e64 v2, v5, v4, s1
; %bb.68:
	s_or_b32 exec_lo, exec_lo, s4
	v_sub_f32_e32 v7, v3, v7
	v_sub_f32_e32 v11, v11, v15
	s_delay_alu instid0(VALU_DEP_1) | instskip(NEXT) | instid1(VALU_DEP_1)
	v_add_f32_e32 v3, v7, v11
	v_mul_f32_e32 v4, s8, v3
	s_delay_alu instid0(VALU_DEP_1) | instskip(NEXT) | instid1(VALU_DEP_1)
	v_and_b32_e32 v3, 0x7f800000, v4
	v_cmp_ne_u32_e64 s1, 0x7f800000, v3
                                        ; implicit-def: $vgpr3
	s_delay_alu instid0(VALU_DEP_1) | instskip(NEXT) | instid1(SALU_CYCLE_1)
	s_and_saveexec_b32 s4, s1
	s_xor_b32 s1, exec_lo, s4
; %bb.69:
	v_bfe_u32 v3, v4, 16, 1
	s_delay_alu instid0(VALU_DEP_1)
	v_add3_u32 v3, v4, v3, 0x7fff
                                        ; implicit-def: $vgpr4
; %bb.70:
	s_and_not1_saveexec_b32 s4, s1
; %bb.71:
	v_and_b32_e32 v3, 0xffff, v4
	v_or_b32_e32 v5, 0x10000, v4
	s_delay_alu instid0(VALU_DEP_2) | instskip(NEXT) | instid1(VALU_DEP_1)
	v_cmp_eq_u32_e64 s1, 0, v3
	v_cndmask_b32_e64 v3, v5, v4, s1
; %bb.72:
	s_or_b32 exec_lo, exec_lo, s4
	v_sub_f32_e32 v4, v44, v45
	s_delay_alu instid0(VALU_DEP_1) | instskip(NEXT) | instid1(VALU_DEP_1)
	v_mul_f32_e32 v5, s8, v4
	v_and_b32_e32 v4, 0x7f800000, v5
	s_delay_alu instid0(VALU_DEP_1) | instskip(NEXT) | instid1(VALU_DEP_1)
	v_cmp_ne_u32_e64 s1, 0x7f800000, v4
                                        ; implicit-def: $vgpr4
	s_and_saveexec_b32 s4, s1
	s_delay_alu instid0(SALU_CYCLE_1)
	s_xor_b32 s1, exec_lo, s4
; %bb.73:
	v_bfe_u32 v4, v5, 16, 1
	s_delay_alu instid0(VALU_DEP_1)
	v_add3_u32 v4, v5, v4, 0x7fff
                                        ; implicit-def: $vgpr5
; %bb.74:
	s_and_not1_saveexec_b32 s4, s1
; %bb.75:
	v_and_b32_e32 v4, 0xffff, v5
	v_or_b32_e32 v13, 0x10000, v5
	s_delay_alu instid0(VALU_DEP_2) | instskip(NEXT) | instid1(VALU_DEP_1)
	v_cmp_eq_u32_e64 s1, 0, v4
	v_cndmask_b32_e64 v4, v13, v5, s1
; %bb.76:
	s_or_b32 exec_lo, exec_lo, s4
	v_sub_f32_e32 v5, v46, v47
	s_delay_alu instid0(VALU_DEP_1) | instskip(NEXT) | instid1(VALU_DEP_1)
	v_mul_f32_e32 v13, s8, v5
	v_and_b32_e32 v5, 0x7f800000, v13
	s_delay_alu instid0(VALU_DEP_1) | instskip(NEXT) | instid1(VALU_DEP_1)
	v_cmp_ne_u32_e64 s1, 0x7f800000, v5
                                        ; implicit-def: $vgpr5
	s_and_saveexec_b32 s4, s1
	s_delay_alu instid0(SALU_CYCLE_1)
	s_xor_b32 s1, exec_lo, s4
; %bb.77:
	v_bfe_u32 v5, v13, 16, 1
	s_delay_alu instid0(VALU_DEP_1)
	v_add3_u32 v5, v13, v5, 0x7fff
                                        ; implicit-def: $vgpr13
; %bb.78:
	s_and_not1_saveexec_b32 s4, s1
; %bb.79:
	v_and_b32_e32 v5, 0xffff, v13
	v_or_b32_e32 v14, 0x10000, v13
	s_delay_alu instid0(VALU_DEP_2) | instskip(NEXT) | instid1(VALU_DEP_1)
	v_cmp_eq_u32_e64 s1, 0, v5
	v_cndmask_b32_e64 v5, v14, v13, s1
; %bb.80:
	s_or_b32 exec_lo, exec_lo, s4
	v_sub_f32_e32 v13, v48, v49
	s_delay_alu instid0(VALU_DEP_1) | instskip(NEXT) | instid1(VALU_DEP_1)
	v_mul_f32_e32 v14, s8, v13
	v_and_b32_e32 v13, 0x7f800000, v14
	s_delay_alu instid0(VALU_DEP_1) | instskip(NEXT) | instid1(VALU_DEP_1)
	v_cmp_ne_u32_e64 s1, 0x7f800000, v13
                                        ; implicit-def: $vgpr13
	s_and_saveexec_b32 s4, s1
	s_delay_alu instid0(SALU_CYCLE_1)
	s_xor_b32 s1, exec_lo, s4
; %bb.81:
	v_bfe_u32 v13, v14, 16, 1
	s_delay_alu instid0(VALU_DEP_1)
	v_add3_u32 v13, v14, v13, 0x7fff
                                        ; implicit-def: $vgpr14
; %bb.82:
	s_and_not1_saveexec_b32 s4, s1
; %bb.83:
	v_and_b32_e32 v13, 0xffff, v14
	v_or_b32_e32 v15, 0x10000, v14
	s_delay_alu instid0(VALU_DEP_2) | instskip(NEXT) | instid1(VALU_DEP_1)
	v_cmp_eq_u32_e64 s1, 0, v13
	v_cndmask_b32_e64 v13, v15, v14, s1
; %bb.84:
	s_or_b32 exec_lo, exec_lo, s4
	v_sub_f32_e32 v14, v50, v51
	s_delay_alu instid0(VALU_DEP_1) | instskip(NEXT) | instid1(VALU_DEP_1)
	v_mul_f32_e32 v15, s8, v14
	v_and_b32_e32 v14, 0x7f800000, v15
	s_delay_alu instid0(VALU_DEP_1) | instskip(NEXT) | instid1(VALU_DEP_1)
	v_cmp_ne_u32_e64 s1, 0x7f800000, v14
                                        ; implicit-def: $vgpr14
	s_and_saveexec_b32 s4, s1
	s_delay_alu instid0(SALU_CYCLE_1)
	s_xor_b32 s1, exec_lo, s4
; %bb.85:
	v_bfe_u32 v14, v15, 16, 1
	s_delay_alu instid0(VALU_DEP_1)
	v_add3_u32 v14, v15, v14, 0x7fff
                                        ; implicit-def: $vgpr15
; %bb.86:
	s_and_not1_saveexec_b32 s4, s1
; %bb.87:
	v_and_b32_e32 v14, 0xffff, v15
	v_or_b32_e32 v29, 0x10000, v15
	s_delay_alu instid0(VALU_DEP_2) | instskip(NEXT) | instid1(VALU_DEP_1)
	v_cmp_eq_u32_e64 s1, 0, v14
	v_cndmask_b32_e64 v14, v29, v15, s1
; %bb.88:
	s_or_b32 exec_lo, exec_lo, s4
	v_sub_f32_e32 v15, v52, v53
	s_delay_alu instid0(VALU_DEP_1) | instskip(NEXT) | instid1(VALU_DEP_1)
	v_mul_f32_e32 v29, s8, v15
	v_and_b32_e32 v15, 0x7f800000, v29
	s_delay_alu instid0(VALU_DEP_1) | instskip(NEXT) | instid1(VALU_DEP_1)
	v_cmp_ne_u32_e64 s1, 0x7f800000, v15
                                        ; implicit-def: $vgpr15
	s_and_saveexec_b32 s4, s1
	s_delay_alu instid0(SALU_CYCLE_1)
	s_xor_b32 s1, exec_lo, s4
; %bb.89:
	v_bfe_u32 v15, v29, 16, 1
	s_delay_alu instid0(VALU_DEP_1)
	v_add3_u32 v15, v29, v15, 0x7fff
                                        ; implicit-def: $vgpr29
; %bb.90:
	s_and_not1_saveexec_b32 s4, s1
; %bb.91:
	v_and_b32_e32 v15, 0xffff, v29
	v_or_b32_e32 v30, 0x10000, v29
	s_delay_alu instid0(VALU_DEP_2) | instskip(NEXT) | instid1(VALU_DEP_1)
	v_cmp_eq_u32_e64 s1, 0, v15
	v_cndmask_b32_e64 v15, v30, v29, s1
; %bb.92:
	s_or_b32 exec_lo, exec_lo, s4
	v_sub_f32_e32 v29, v54, v55
	s_delay_alu instid0(VALU_DEP_1) | instskip(NEXT) | instid1(VALU_DEP_1)
	v_mul_f32_e32 v30, s8, v29
	v_and_b32_e32 v29, 0x7f800000, v30
	s_delay_alu instid0(VALU_DEP_1) | instskip(NEXT) | instid1(VALU_DEP_1)
	v_cmp_ne_u32_e64 s1, 0x7f800000, v29
                                        ; implicit-def: $vgpr29
	s_and_saveexec_b32 s4, s1
	s_delay_alu instid0(SALU_CYCLE_1)
	s_xor_b32 s1, exec_lo, s4
; %bb.93:
	v_bfe_u32 v29, v30, 16, 1
	s_delay_alu instid0(VALU_DEP_1)
	v_add3_u32 v29, v30, v29, 0x7fff
                                        ; implicit-def: $vgpr30
; %bb.94:
	s_and_not1_saveexec_b32 s4, s1
; %bb.95:
	v_and_b32_e32 v29, 0xffff, v30
	v_or_b32_e32 v31, 0x10000, v30
	s_delay_alu instid0(VALU_DEP_2) | instskip(NEXT) | instid1(VALU_DEP_1)
	v_cmp_eq_u32_e64 s1, 0, v29
	v_cndmask_b32_e64 v29, v31, v30, s1
; %bb.96:
	s_or_b32 exec_lo, exec_lo, s4
	v_sub_f32_e32 v30, v56, v57
	s_delay_alu instid0(VALU_DEP_1) | instskip(NEXT) | instid1(VALU_DEP_1)
	v_mul_f32_e32 v31, s8, v30
	v_and_b32_e32 v30, 0x7f800000, v31
	s_delay_alu instid0(VALU_DEP_1) | instskip(NEXT) | instid1(VALU_DEP_1)
	v_cmp_ne_u32_e64 s1, 0x7f800000, v30
                                        ; implicit-def: $vgpr30
	s_and_saveexec_b32 s4, s1
	s_delay_alu instid0(SALU_CYCLE_1)
	s_xor_b32 s1, exec_lo, s4
; %bb.97:
	v_bfe_u32 v30, v31, 16, 1
	s_delay_alu instid0(VALU_DEP_1)
	v_add3_u32 v30, v31, v30, 0x7fff
                                        ; implicit-def: $vgpr31
; %bb.98:
	s_and_not1_saveexec_b32 s4, s1
; %bb.99:
	v_and_b32_e32 v30, 0xffff, v31
	v_or_b32_e32 v44, 0x10000, v31
	s_delay_alu instid0(VALU_DEP_2) | instskip(NEXT) | instid1(VALU_DEP_1)
	v_cmp_eq_u32_e64 s1, 0, v30
	v_cndmask_b32_e64 v30, v44, v31, s1
; %bb.100:
	s_or_b32 exec_lo, exec_lo, s4
	v_sub_f32_e32 v31, v58, v59
	s_delay_alu instid0(VALU_DEP_1) | instskip(NEXT) | instid1(VALU_DEP_1)
	v_mul_f32_e32 v44, s8, v31
	v_and_b32_e32 v31, 0x7f800000, v44
	s_delay_alu instid0(VALU_DEP_1) | instskip(NEXT) | instid1(VALU_DEP_1)
	v_cmp_ne_u32_e64 s1, 0x7f800000, v31
                                        ; implicit-def: $vgpr31
	s_and_saveexec_b32 s4, s1
	s_delay_alu instid0(SALU_CYCLE_1)
	s_xor_b32 s1, exec_lo, s4
; %bb.101:
	v_bfe_u32 v31, v44, 16, 1
	s_delay_alu instid0(VALU_DEP_1)
	v_add3_u32 v31, v44, v31, 0x7fff
                                        ; implicit-def: $vgpr44
; %bb.102:
	s_and_not1_saveexec_b32 s4, s1
; %bb.103:
	v_and_b32_e32 v31, 0xffff, v44
	v_or_b32_e32 v45, 0x10000, v44
	s_delay_alu instid0(VALU_DEP_2) | instskip(NEXT) | instid1(VALU_DEP_1)
	v_cmp_eq_u32_e64 s1, 0, v31
	v_cndmask_b32_e64 v31, v45, v44, s1
; %bb.104:
	s_or_b32 exec_lo, exec_lo, s4
	v_sub_f32_e32 v20, v24, v20
	s_delay_alu instid0(VALU_DEP_1) | instskip(NEXT) | instid1(VALU_DEP_1)
	v_mul_f32_e32 v24, s8, v20
	v_and_b32_e32 v20, 0x7f800000, v24
	s_delay_alu instid0(VALU_DEP_1) | instskip(NEXT) | instid1(VALU_DEP_1)
	v_cmp_ne_u32_e64 s1, 0x7f800000, v20
                                        ; implicit-def: $vgpr20
	s_and_saveexec_b32 s4, s1
	s_delay_alu instid0(SALU_CYCLE_1)
	s_xor_b32 s1, exec_lo, s4
; %bb.105:
	v_bfe_u32 v20, v24, 16, 1
	s_delay_alu instid0(VALU_DEP_1)
	v_add3_u32 v20, v24, v20, 0x7fff
                                        ; implicit-def: $vgpr24
; %bb.106:
	s_and_not1_saveexec_b32 s4, s1
; %bb.107:
	v_and_b32_e32 v20, 0xffff, v24
	v_or_b32_e32 v44, 0x10000, v24
	s_delay_alu instid0(VALU_DEP_2) | instskip(NEXT) | instid1(VALU_DEP_1)
	v_cmp_eq_u32_e64 s1, 0, v20
	v_cndmask_b32_e64 v20, v44, v24, s1
; %bb.108:
	s_or_b32 exec_lo, exec_lo, s4
	v_sub_f32_e32 v21, v25, v21
	s_delay_alu instid0(VALU_DEP_1) | instskip(NEXT) | instid1(VALU_DEP_1)
	v_mul_f32_e32 v24, s8, v21
	v_and_b32_e32 v21, 0x7f800000, v24
	s_delay_alu instid0(VALU_DEP_1) | instskip(NEXT) | instid1(VALU_DEP_1)
	v_cmp_ne_u32_e64 s1, 0x7f800000, v21
                                        ; implicit-def: $vgpr21
	s_and_saveexec_b32 s4, s1
	s_delay_alu instid0(SALU_CYCLE_1)
	s_xor_b32 s1, exec_lo, s4
; %bb.109:
	v_bfe_u32 v21, v24, 16, 1
	s_delay_alu instid0(VALU_DEP_1)
	v_add3_u32 v21, v24, v21, 0x7fff
                                        ; implicit-def: $vgpr24
; %bb.110:
	s_and_not1_saveexec_b32 s4, s1
; %bb.111:
	v_and_b32_e32 v21, 0xffff, v24
	v_or_b32_e32 v25, 0x10000, v24
	s_delay_alu instid0(VALU_DEP_2) | instskip(NEXT) | instid1(VALU_DEP_1)
	v_cmp_eq_u32_e64 s1, 0, v21
	v_cndmask_b32_e64 v21, v25, v24, s1
; %bb.112:
	s_or_b32 exec_lo, exec_lo, s4
	v_sub_f32_e32 v22, v26, v22
	s_delay_alu instid0(VALU_DEP_1) | instskip(NEXT) | instid1(VALU_DEP_1)
	v_mul_f32_e32 v24, s8, v22
	v_and_b32_e32 v22, 0x7f800000, v24
	s_delay_alu instid0(VALU_DEP_1) | instskip(NEXT) | instid1(VALU_DEP_1)
	v_cmp_ne_u32_e64 s1, 0x7f800000, v22
                                        ; implicit-def: $vgpr22
	s_and_saveexec_b32 s4, s1
	s_delay_alu instid0(SALU_CYCLE_1)
	s_xor_b32 s1, exec_lo, s4
; %bb.113:
	v_bfe_u32 v22, v24, 16, 1
	s_delay_alu instid0(VALU_DEP_1)
	v_add3_u32 v22, v24, v22, 0x7fff
                                        ; implicit-def: $vgpr24
; %bb.114:
	s_and_not1_saveexec_b32 s4, s1
; %bb.115:
	v_and_b32_e32 v22, 0xffff, v24
	v_or_b32_e32 v25, 0x10000, v24
	s_delay_alu instid0(VALU_DEP_2) | instskip(NEXT) | instid1(VALU_DEP_1)
	v_cmp_eq_u32_e64 s1, 0, v22
	v_cndmask_b32_e64 v22, v25, v24, s1
; %bb.116:
	s_or_b32 exec_lo, exec_lo, s4
	v_sub_f32_e32 v23, v27, v23
	s_delay_alu instid0(VALU_DEP_1) | instskip(NEXT) | instid1(VALU_DEP_1)
	v_mul_f32_e32 v24, s8, v23
	v_and_b32_e32 v23, 0x7f800000, v24
	s_delay_alu instid0(VALU_DEP_1) | instskip(NEXT) | instid1(VALU_DEP_1)
	v_cmp_ne_u32_e64 s1, 0x7f800000, v23
                                        ; implicit-def: $vgpr23
	s_and_saveexec_b32 s4, s1
	s_delay_alu instid0(SALU_CYCLE_1)
	s_xor_b32 s1, exec_lo, s4
; %bb.117:
	v_bfe_u32 v23, v24, 16, 1
	s_delay_alu instid0(VALU_DEP_1)
	v_add3_u32 v23, v24, v23, 0x7fff
                                        ; implicit-def: $vgpr24
; %bb.118:
	s_and_not1_saveexec_b32 s4, s1
; %bb.119:
	v_and_b32_e32 v23, 0xffff, v24
	v_or_b32_e32 v25, 0x10000, v24
	s_delay_alu instid0(VALU_DEP_2) | instskip(NEXT) | instid1(VALU_DEP_1)
	v_cmp_eq_u32_e64 s1, 0, v23
	v_cndmask_b32_e64 v23, v25, v24, s1
; %bb.120:
	s_or_b32 exec_lo, exec_lo, s4
	v_sub_f32_e32 v8, v28, v8
	s_delay_alu instid0(VALU_DEP_1) | instskip(NEXT) | instid1(VALU_DEP_1)
	v_mul_f32_e32 v24, s8, v8
	v_and_b32_e32 v8, 0x7f800000, v24
	s_delay_alu instid0(VALU_DEP_1) | instskip(NEXT) | instid1(VALU_DEP_1)
	v_cmp_ne_u32_e64 s1, 0x7f800000, v8
                                        ; implicit-def: $vgpr8
	s_and_saveexec_b32 s4, s1
	s_delay_alu instid0(SALU_CYCLE_1)
	s_xor_b32 s1, exec_lo, s4
; %bb.121:
	v_bfe_u32 v8, v24, 16, 1
	s_delay_alu instid0(VALU_DEP_1)
	v_add3_u32 v8, v24, v8, 0x7fff
                                        ; implicit-def: $vgpr24
; %bb.122:
	s_and_not1_saveexec_b32 s4, s1
; %bb.123:
	v_and_b32_e32 v8, 0xffff, v24
	v_or_b32_e32 v25, 0x10000, v24
	s_delay_alu instid0(VALU_DEP_2) | instskip(NEXT) | instid1(VALU_DEP_1)
	v_cmp_eq_u32_e64 s1, 0, v8
	v_cndmask_b32_e64 v8, v25, v24, s1
; %bb.124:
	s_or_b32 exec_lo, exec_lo, s4
	v_sub_f32_e32 v9, v12, v9
	s_delay_alu instid0(VALU_DEP_1) | instskip(NEXT) | instid1(VALU_DEP_1)
	v_mul_f32_e32 v12, s8, v9
	v_and_b32_e32 v9, 0x7f800000, v12
	s_delay_alu instid0(VALU_DEP_1) | instskip(NEXT) | instid1(VALU_DEP_1)
	v_cmp_ne_u32_e64 s1, 0x7f800000, v9
                                        ; implicit-def: $vgpr9
	s_and_saveexec_b32 s4, s1
	s_delay_alu instid0(SALU_CYCLE_1)
	s_xor_b32 s1, exec_lo, s4
; %bb.125:
	v_bfe_u32 v9, v12, 16, 1
	s_delay_alu instid0(VALU_DEP_1)
	v_add3_u32 v9, v12, v9, 0x7fff
                                        ; implicit-def: $vgpr12
; %bb.126:
	s_and_not1_saveexec_b32 s4, s1
; %bb.127:
	v_and_b32_e32 v9, 0xffff, v12
	v_or_b32_e32 v24, 0x10000, v12
	s_delay_alu instid0(VALU_DEP_2) | instskip(NEXT) | instid1(VALU_DEP_1)
	v_cmp_eq_u32_e64 s1, 0, v9
	v_cndmask_b32_e64 v9, v24, v12, s1
; %bb.128:
	s_or_b32 exec_lo, exec_lo, s4
	v_sub_f32_e32 v6, v6, v10
	s_delay_alu instid0(VALU_DEP_1) | instskip(NEXT) | instid1(VALU_DEP_1)
	v_mul_f32_e32 v10, s8, v6
	v_and_b32_e32 v6, 0x7f800000, v10
	s_delay_alu instid0(VALU_DEP_1) | instskip(NEXT) | instid1(VALU_DEP_1)
	v_cmp_ne_u32_e64 s1, 0x7f800000, v6
                                        ; implicit-def: $vgpr6
	s_and_saveexec_b32 s4, s1
	s_delay_alu instid0(SALU_CYCLE_1)
	s_xor_b32 s1, exec_lo, s4
; %bb.129:
	v_bfe_u32 v6, v10, 16, 1
	s_delay_alu instid0(VALU_DEP_1)
	v_add3_u32 v6, v10, v6, 0x7fff
                                        ; implicit-def: $vgpr10
; %bb.130:
	s_and_not1_saveexec_b32 s4, s1
; %bb.131:
	v_and_b32_e32 v6, 0xffff, v10
	v_or_b32_e32 v12, 0x10000, v10
	s_delay_alu instid0(VALU_DEP_2) | instskip(NEXT) | instid1(VALU_DEP_1)
	v_cmp_eq_u32_e64 s1, 0, v6
	v_cndmask_b32_e64 v6, v12, v10, s1
; %bb.132:
	s_or_b32 exec_lo, exec_lo, s4
	v_sub_f32_e32 v7, v7, v11
	s_delay_alu instid0(VALU_DEP_1) | instskip(NEXT) | instid1(VALU_DEP_1)
	v_mul_f32_e32 v10, s8, v7
	v_and_b32_e32 v7, 0x7f800000, v10
	s_delay_alu instid0(VALU_DEP_1) | instskip(NEXT) | instid1(VALU_DEP_1)
	v_cmp_ne_u32_e64 s1, 0x7f800000, v7
                                        ; implicit-def: $vgpr7
	s_and_saveexec_b32 s4, s1
	s_delay_alu instid0(SALU_CYCLE_1)
	s_xor_b32 s1, exec_lo, s4
; %bb.133:
	v_bfe_u32 v7, v10, 16, 1
	s_delay_alu instid0(VALU_DEP_1)
	v_add3_u32 v7, v10, v7, 0x7fff
                                        ; implicit-def: $vgpr10
; %bb.134:
	s_and_not1_saveexec_b32 s4, s1
; %bb.135:
	v_and_b32_e32 v7, 0xffff, v10
	v_or_b32_e32 v11, 0x10000, v10
	s_delay_alu instid0(VALU_DEP_2) | instskip(NEXT) | instid1(VALU_DEP_1)
	v_cmp_eq_u32_e64 s1, 0, v7
	v_cndmask_b32_e64 v7, v11, v10, s1
; %bb.136:
	s_or_b32 exec_lo, exec_lo, s4
	s_mul_i32 s1, s10, s12
	s_mul_hi_u32 s4, s10, s15
	s_mul_i32 s5, s11, s15
	s_add_i32 s1, s4, s1
	s_mul_i32 s4, s10, s15
	s_add_i32 s5, s1, s5
	s_delay_alu instid0(SALU_CYCLE_1) | instskip(NEXT) | instid1(SALU_CYCLE_1)
	s_lshl_b64 s[4:5], s[4:5], 1
	s_add_u32 s4, s18, s4
	s_addc_u32 s5, s19, s5
	s_and_saveexec_b32 s1, vcc_lo
	s_cbranch_execnz .LBB36_141
; %bb.137:
	s_or_b32 exec_lo, exec_lo, s1
	s_and_saveexec_b32 s1, s2
	s_cbranch_execnz .LBB36_142
.LBB36_138:
	s_or_b32 exec_lo, exec_lo, s1
	s_and_saveexec_b32 s1, s3
	s_cbranch_execnz .LBB36_143
.LBB36_139:
	s_or_b32 exec_lo, exec_lo, s1
	s_and_saveexec_b32 s1, s0
	s_cbranch_execnz .LBB36_144
.LBB36_140:
	s_nop 0
	s_sendmsg sendmsg(MSG_DEALLOC_VGPRS)
	s_endpgm
.LBB36_141:
	v_perm_b32 v27, v43, v42, 0x7060302
	v_perm_b32 v26, v41, v40, 0x7060302
	;; [unrolled: 1-line block ×4, first 2 shown]
	global_store_b128 v32, v[24:27], s[4:5]
	s_or_b32 exec_lo, exec_lo, s1
	s_and_saveexec_b32 s1, s2
	s_cbranch_execz .LBB36_138
.LBB36_142:
	v_perm_b32 v3, v3, v2, 0x7060302
	v_perm_b32 v2, v1, v0, 0x7060302
	;; [unrolled: 1-line block ×4, first 2 shown]
	global_store_b128 v33, v[0:3], s[4:5]
	s_or_b32 exec_lo, exec_lo, s1
	s_and_saveexec_b32 s1, s3
	s_cbranch_execz .LBB36_139
.LBB36_143:
	v_perm_b32 v3, v31, v30, 0x7060302
	v_perm_b32 v2, v29, v15, 0x7060302
	;; [unrolled: 1-line block ×4, first 2 shown]
	global_store_b128 v34, v[0:3], s[4:5]
	s_or_b32 exec_lo, exec_lo, s1
	s_and_saveexec_b32 s1, s0
	s_cbranch_execz .LBB36_140
.LBB36_144:
	v_perm_b32 v3, v7, v6, 0x7060302
	v_perm_b32 v2, v9, v8, 0x7060302
	;; [unrolled: 1-line block ×4, first 2 shown]
	global_store_b128 v35, v[0:3], s[4:5]
	s_nop 0
	s_sendmsg sendmsg(MSG_DEALLOC_VGPRS)
	s_endpgm
	.section	.rodata,"a",@progbits
	.p2align	6, 0x0
	.amdhsa_kernel _Z30fast_hadamard_transform_kernelI37fast_hadamard_transform_kernel_traitsILi256ELi13E14__hip_bfloat16EEv18HadamardParamsBase
		.amdhsa_group_segment_fixed_size 0
		.amdhsa_private_segment_fixed_size 0
		.amdhsa_kernarg_size 312
		.amdhsa_user_sgpr_count 15
		.amdhsa_user_sgpr_dispatch_ptr 0
		.amdhsa_user_sgpr_queue_ptr 0
		.amdhsa_user_sgpr_kernarg_segment_ptr 1
		.amdhsa_user_sgpr_dispatch_id 0
		.amdhsa_user_sgpr_private_segment_size 0
		.amdhsa_wavefront_size32 1
		.amdhsa_uses_dynamic_stack 0
		.amdhsa_enable_private_segment 0
		.amdhsa_system_sgpr_workgroup_id_x 1
		.amdhsa_system_sgpr_workgroup_id_y 0
		.amdhsa_system_sgpr_workgroup_id_z 0
		.amdhsa_system_sgpr_workgroup_info 0
		.amdhsa_system_vgpr_workitem_id 0
		.amdhsa_next_free_vgpr 62
		.amdhsa_next_free_sgpr 20
		.amdhsa_reserve_vcc 1
		.amdhsa_float_round_mode_32 0
		.amdhsa_float_round_mode_16_64 0
		.amdhsa_float_denorm_mode_32 3
		.amdhsa_float_denorm_mode_16_64 3
		.amdhsa_dx10_clamp 1
		.amdhsa_ieee_mode 1
		.amdhsa_fp16_overflow 0
		.amdhsa_workgroup_processor_mode 1
		.amdhsa_memory_ordered 1
		.amdhsa_forward_progress 0
		.amdhsa_shared_vgpr_count 0
		.amdhsa_exception_fp_ieee_invalid_op 0
		.amdhsa_exception_fp_denorm_src 0
		.amdhsa_exception_fp_ieee_div_zero 0
		.amdhsa_exception_fp_ieee_overflow 0
		.amdhsa_exception_fp_ieee_underflow 0
		.amdhsa_exception_fp_ieee_inexact 0
		.amdhsa_exception_int_div_zero 0
	.end_amdhsa_kernel
	.section	.text._Z30fast_hadamard_transform_kernelI37fast_hadamard_transform_kernel_traitsILi256ELi13E14__hip_bfloat16EEv18HadamardParamsBase,"axG",@progbits,_Z30fast_hadamard_transform_kernelI37fast_hadamard_transform_kernel_traitsILi256ELi13E14__hip_bfloat16EEv18HadamardParamsBase,comdat
.Lfunc_end36:
	.size	_Z30fast_hadamard_transform_kernelI37fast_hadamard_transform_kernel_traitsILi256ELi13E14__hip_bfloat16EEv18HadamardParamsBase, .Lfunc_end36-_Z30fast_hadamard_transform_kernelI37fast_hadamard_transform_kernel_traitsILi256ELi13E14__hip_bfloat16EEv18HadamardParamsBase
                                        ; -- End function
	.section	.AMDGPU.csdata,"",@progbits
; Kernel info:
; codeLenInByte = 11532
; NumSgprs: 22
; NumVgprs: 62
; ScratchSize: 0
; MemoryBound: 0
; FloatMode: 240
; IeeeMode: 1
; LDSByteSize: 0 bytes/workgroup (compile time only)
; SGPRBlocks: 2
; VGPRBlocks: 7
; NumSGPRsForWavesPerEU: 22
; NumVGPRsForWavesPerEU: 62
; Occupancy: 16
; WaveLimiterHint : 0
; COMPUTE_PGM_RSRC2:SCRATCH_EN: 0
; COMPUTE_PGM_RSRC2:USER_SGPR: 15
; COMPUTE_PGM_RSRC2:TRAP_HANDLER: 0
; COMPUTE_PGM_RSRC2:TGID_X_EN: 1
; COMPUTE_PGM_RSRC2:TGID_Y_EN: 0
; COMPUTE_PGM_RSRC2:TGID_Z_EN: 0
; COMPUTE_PGM_RSRC2:TIDIG_COMP_CNT: 0
	.section	.text._Z30fast_hadamard_transform_kernelI37fast_hadamard_transform_kernel_traitsILi256ELi14E14__hip_bfloat16EEv18HadamardParamsBase,"axG",@progbits,_Z30fast_hadamard_transform_kernelI37fast_hadamard_transform_kernel_traitsILi256ELi14E14__hip_bfloat16EEv18HadamardParamsBase,comdat
	.protected	_Z30fast_hadamard_transform_kernelI37fast_hadamard_transform_kernel_traitsILi256ELi14E14__hip_bfloat16EEv18HadamardParamsBase ; -- Begin function _Z30fast_hadamard_transform_kernelI37fast_hadamard_transform_kernel_traitsILi256ELi14E14__hip_bfloat16EEv18HadamardParamsBase
	.globl	_Z30fast_hadamard_transform_kernelI37fast_hadamard_transform_kernel_traitsILi256ELi14E14__hip_bfloat16EEv18HadamardParamsBase
	.p2align	8
	.type	_Z30fast_hadamard_transform_kernelI37fast_hadamard_transform_kernel_traitsILi256ELi14E14__hip_bfloat16EEv18HadamardParamsBase,@function
_Z30fast_hadamard_transform_kernelI37fast_hadamard_transform_kernel_traitsILi256ELi14E14__hip_bfloat16EEv18HadamardParamsBase: ; @_Z30fast_hadamard_transform_kernelI37fast_hadamard_transform_kernel_traitsILi256ELi14E14__hip_bfloat16EEv18HadamardParamsBase
; %bb.0:
	s_clause 0x3
	s_load_b128 s[16:19], s[0:1], 0x10
	s_load_b32 s10, s[0:1], 0x4
	s_load_b128 s[20:23], s[0:1], 0x28
	s_load_b32 s2, s[0:1], 0x44
	s_ashr_i32 s12, s15, 31
	v_dual_mov_b32 v10, 0 :: v_dual_lshlrev_b32 v9, 3, v0
	v_dual_mov_b32 v1, 0 :: v_dual_mov_b32 v2, 0
	v_dual_mov_b32 v3, 0 :: v_dual_mov_b32 v4, 0
	;; [unrolled: 1-line block ×4, first 2 shown]
	v_lshlrev_b32_e32 v64, 4, v0
	s_waitcnt lgkmcnt(0)
	s_mul_hi_u32 s3, s16, s15
	s_mul_i32 s4, s16, s12
	s_mul_i32 s5, s17, s15
	s_add_i32 s3, s3, s4
	s_mul_i32 s4, s16, s15
	s_add_i32 s5, s3, s5
	v_cmp_gt_u32_e32 vcc_lo, s10, v9
	s_lshl_b64 s[4:5], s[4:5], 1
	s_delay_alu instid0(SALU_CYCLE_1)
	s_add_u32 s8, s20, s4
	s_addc_u32 s9, s21, s5
	s_and_saveexec_b32 s3, vcc_lo
	s_cbranch_execz .LBB37_2
; %bb.1:
	global_load_b128 v[11:14], v64, s[8:9]
	s_waitcnt vmcnt(0)
	v_and_b32_e32 v10, 0xffff0000, v11
	v_lshlrev_b32_e32 v8, 16, v11
	v_and_b32_e32 v7, 0xffff0000, v12
	v_lshlrev_b32_e32 v6, 16, v12
	;; [unrolled: 2-line block ×4, first 2 shown]
.LBB37_2:
	s_or_b32 exec_lo, exec_lo, s3
	s_and_b32 s11, 0xffff, s2
	v_dual_mov_b32 v11, 0 :: v_dual_mov_b32 v14, 0
	v_dual_mov_b32 v12, 0 :: v_dual_add_nc_u32 v15, s11, v0
	v_mov_b32_e32 v9, 0
	v_dual_mov_b32 v13, 0 :: v_dual_mov_b32 v18, 0
	s_delay_alu instid0(VALU_DEP_3) | instskip(SKIP_2) | instid1(VALU_DEP_3)
	v_lshlrev_b32_e32 v16, 3, v15
	v_lshlrev_b32_e32 v65, 4, v15
	v_mov_b32_e32 v19, 0
	v_cmp_gt_u32_e64 s2, s10, v16
	s_delay_alu instid0(VALU_DEP_1)
	s_and_saveexec_b32 s3, s2
	s_cbranch_execz .LBB37_4
; %bb.3:
	global_load_b128 v[20:23], v65, s[8:9]
	s_waitcnt vmcnt(0)
	v_and_b32_e32 v19, 0xffff0000, v20
	v_lshlrev_b32_e32 v18, 16, v20
	v_and_b32_e32 v14, 0xffff0000, v21
	v_lshlrev_b32_e32 v13, 16, v21
	;; [unrolled: 2-line block ×4, first 2 shown]
.LBB37_4:
	s_or_b32 exec_lo, exec_lo, s3
	v_dual_mov_b32 v15, 0 :: v_dual_add_nc_u32 v24, s11, v15
	v_mov_b32_e32 v20, 0
	v_dual_mov_b32 v16, 0 :: v_dual_mov_b32 v17, 0
	s_delay_alu instid0(VALU_DEP_3) | instskip(SKIP_2) | instid1(VALU_DEP_3)
	v_lshlrev_b32_e32 v25, 3, v24
	v_dual_mov_b32 v21, 0 :: v_dual_mov_b32 v22, 0
	v_dual_mov_b32 v23, 0 :: v_dual_lshlrev_b32 v66, 4, v24
	v_cmp_gt_u32_e64 s3, s10, v25
	v_dual_mov_b32 v25, 0 :: v_dual_mov_b32 v26, 0
	s_delay_alu instid0(VALU_DEP_2)
	s_and_saveexec_b32 s4, s3
	s_cbranch_execz .LBB37_6
; %bb.5:
	global_load_b128 v[27:30], v66, s[8:9]
	s_waitcnt vmcnt(0)
	v_and_b32_e32 v26, 0xffff0000, v27
	v_lshlrev_b32_e32 v25, 16, v27
	v_and_b32_e32 v23, 0xffff0000, v28
	v_lshlrev_b32_e32 v22, 16, v28
	;; [unrolled: 2-line block ×4, first 2 shown]
.LBB37_6:
	s_or_b32 exec_lo, exec_lo, s4
	v_dual_mov_b32 v24, 0 :: v_dual_add_nc_u32 v31, s11, v24
	v_dual_mov_b32 v27, 0 :: v_dual_mov_b32 v28, 0
	s_delay_alu instid0(VALU_DEP_2) | instskip(SKIP_2) | instid1(VALU_DEP_2)
	v_dual_mov_b32 v30, 0 :: v_dual_lshlrev_b32 v67, 4, v31
	v_dual_mov_b32 v29, 0 :: v_dual_lshlrev_b32 v32, 3, v31
	v_dual_mov_b32 v34, 0 :: v_dual_mov_b32 v35, 0
	v_cmp_gt_u32_e64 s4, s10, v32
	s_delay_alu instid0(VALU_DEP_1)
	s_and_saveexec_b32 s5, s4
	s_cbranch_execz .LBB37_8
; %bb.7:
	global_load_b128 v[36:39], v67, s[8:9]
	s_waitcnt vmcnt(0)
	v_and_b32_e32 v35, 0xffff0000, v36
	v_lshlrev_b32_e32 v34, 16, v36
	v_and_b32_e32 v30, 0xffff0000, v37
	v_lshlrev_b32_e32 v29, 16, v37
	;; [unrolled: 2-line block ×4, first 2 shown]
.LBB37_8:
	s_or_b32 exec_lo, exec_lo, s5
	v_dual_mov_b32 v31, 0 :: v_dual_add_nc_u32 v40, s11, v31
	v_mov_b32_e32 v36, 0
	v_dual_mov_b32 v32, 0 :: v_dual_mov_b32 v33, 0
	s_delay_alu instid0(VALU_DEP_3) | instskip(SKIP_2) | instid1(VALU_DEP_3)
	v_lshlrev_b32_e32 v41, 3, v40
	v_dual_mov_b32 v37, 0 :: v_dual_mov_b32 v38, 0
	v_dual_mov_b32 v39, 0 :: v_dual_lshlrev_b32 v68, 4, v40
	v_cmp_gt_u32_e64 s5, s10, v41
	v_dual_mov_b32 v41, 0 :: v_dual_mov_b32 v42, 0
	s_delay_alu instid0(VALU_DEP_2)
	s_and_saveexec_b32 s6, s5
	s_cbranch_execz .LBB37_10
; %bb.9:
	global_load_b128 v[43:46], v68, s[8:9]
	s_waitcnt vmcnt(0)
	v_and_b32_e32 v42, 0xffff0000, v43
	v_lshlrev_b32_e32 v41, 16, v43
	v_and_b32_e32 v39, 0xffff0000, v44
	v_lshlrev_b32_e32 v38, 16, v44
	;; [unrolled: 2-line block ×4, first 2 shown]
.LBB37_10:
	s_or_b32 exec_lo, exec_lo, s6
	v_dual_mov_b32 v40, 0 :: v_dual_add_nc_u32 v47, s11, v40
	v_dual_mov_b32 v43, 0 :: v_dual_mov_b32 v44, 0
	s_delay_alu instid0(VALU_DEP_2) | instskip(SKIP_2) | instid1(VALU_DEP_2)
	v_dual_mov_b32 v46, 0 :: v_dual_lshlrev_b32 v69, 4, v47
	v_dual_mov_b32 v45, 0 :: v_dual_lshlrev_b32 v48, 3, v47
	v_dual_mov_b32 v50, 0 :: v_dual_mov_b32 v51, 0
	v_cmp_gt_u32_e64 s6, s10, v48
	s_delay_alu instid0(VALU_DEP_1)
	s_and_saveexec_b32 s7, s6
	s_cbranch_execz .LBB37_12
; %bb.11:
	global_load_b128 v[52:55], v69, s[8:9]
	s_waitcnt vmcnt(0)
	v_and_b32_e32 v51, 0xffff0000, v52
	v_lshlrev_b32_e32 v50, 16, v52
	v_and_b32_e32 v46, 0xffff0000, v53
	v_lshlrev_b32_e32 v45, 16, v53
	;; [unrolled: 2-line block ×4, first 2 shown]
.LBB37_12:
	s_or_b32 exec_lo, exec_lo, s7
	v_dual_mov_b32 v47, 0 :: v_dual_add_nc_u32 v56, s11, v47
	v_mov_b32_e32 v52, 0
	v_dual_mov_b32 v48, 0 :: v_dual_mov_b32 v49, 0
	s_delay_alu instid0(VALU_DEP_3) | instskip(SKIP_2) | instid1(VALU_DEP_3)
	v_lshlrev_b32_e32 v57, 3, v56
	v_dual_mov_b32 v53, 0 :: v_dual_mov_b32 v54, 0
	v_dual_mov_b32 v55, 0 :: v_dual_lshlrev_b32 v70, 4, v56
	v_cmp_gt_u32_e64 s7, s10, v57
	v_dual_mov_b32 v57, 0 :: v_dual_mov_b32 v58, 0
	s_delay_alu instid0(VALU_DEP_2)
	s_and_saveexec_b32 s13, s7
	s_cbranch_execz .LBB37_14
; %bb.13:
	global_load_b128 v[59:62], v70, s[8:9]
	s_waitcnt vmcnt(0)
	v_and_b32_e32 v58, 0xffff0000, v59
	v_lshlrev_b32_e32 v57, 16, v59
	v_and_b32_e32 v55, 0xffff0000, v60
	v_lshlrev_b32_e32 v54, 16, v60
	;; [unrolled: 2-line block ×4, first 2 shown]
.LBB37_14:
	s_or_b32 exec_lo, exec_lo, s13
	s_load_b32 s13, s[0:1], 0x20
	v_dual_mov_b32 v56, 0 :: v_dual_add_nc_u32 v59, s11, v56
	v_dual_mov_b32 v61, 0 :: v_dual_mov_b32 v62, 0
	v_dual_mov_b32 v63, 0 :: v_dual_mov_b32 v72, 0
	s_delay_alu instid0(VALU_DEP_3) | instskip(SKIP_2) | instid1(VALU_DEP_3)
	v_lshlrev_b32_e32 v60, 3, v59
	v_lshlrev_b32_e32 v71, 4, v59
	v_mov_b32_e32 v59, 0
	v_cmp_gt_u32_e64 s0, s10, v60
	v_mov_b32_e32 v60, 0
	s_delay_alu instid0(VALU_DEP_2)
	s_and_saveexec_b32 s1, s0
	s_cbranch_execz .LBB37_16
; %bb.15:
	global_load_b128 v[73:76], v71, s[8:9]
	s_waitcnt vmcnt(0)
	v_and_b32_e32 v72, 0xffff0000, v73
	v_lshlrev_b32_e32 v63, 16, v73
	v_and_b32_e32 v62, 0xffff0000, v74
	v_lshlrev_b32_e32 v61, 16, v74
	;; [unrolled: 2-line block ×4, first 2 shown]
.LBB37_16:
	s_or_b32 exec_lo, exec_lo, s1
	v_add_f32_e32 v73, v8, v10
	v_sub_f32_e32 v8, v8, v10
	v_add_f32_e32 v10, v18, v19
	v_dual_sub_f32 v18, v18, v19 :: v_dual_add_f32 v19, v25, v26
	v_dual_sub_f32 v25, v25, v26 :: v_dual_add_f32 v26, v34, v35
	;; [unrolled: 1-line block ×24, first 2 shown]
	v_sub_f32_e32 v1, v1, v9
	v_add_f32_e32 v9, v16, v17
	v_dual_sub_f32 v16, v16, v17 :: v_dual_add_f32 v17, v15, v24
	v_dual_sub_f32 v15, v15, v24 :: v_dual_add_f32 v24, v32, v33
	;; [unrolled: 1-line block ×5, first 2 shown]
	v_sub_f32_e32 v47, v47, v56
	v_add_f32_e32 v56, v73, v72
	v_dual_sub_f32 v72, v73, v72 :: v_dual_add_f32 v73, v10, v7
	v_dual_sub_f32 v7, v10, v7 :: v_dual_add_f32 v10, v19, v14
	;; [unrolled: 1-line block ×8, first 2 shown]
	v_sub_f32_e32 v6, v8, v6
	v_add_f32_e32 v8, v18, v13
	v_dual_sub_f32 v13, v18, v13 :: v_dual_add_f32 v18, v25, v22
	v_dual_sub_f32 v22, v25, v22 :: v_dual_add_f32 v25, v34, v29
	;; [unrolled: 1-line block ×6, first 2 shown]
	v_sub_f32_e32 v61, v63, v61
	v_add_f32_e32 v63, v62, v60
	v_sub_f32_e32 v60, v62, v60
	v_add_f32_e32 v62, v5, v3
	;; [unrolled: 2-line block ×17, first 2 shown]
	v_dual_sub_f32 v56, v56, v63 :: v_dual_add_f32 v63, v73, v62
	v_dual_sub_f32 v62, v73, v62 :: v_dual_add_f32 v73, v10, v5
	;; [unrolled: 1-line block ×9, first 2 shown]
	v_sub_f32_e32 v8, v8, v4
	v_mbcnt_lo_u32_b32 v4, -1, 0
	v_dual_add_f32 v74, v18, v1 :: v_dual_add_f32 v75, v25, v20
	v_sub_f32_e32 v18, v18, v1
	v_sub_f32_e32 v20, v25, v20
	s_delay_alu instid0(VALU_DEP_4) | instskip(SKIP_3) | instid1(VALU_DEP_4)
	v_xor_b32_e32 v1, 1, v4
	v_add_f32_e32 v25, v34, v27
	v_dual_sub_f32 v27, v34, v27 :: v_dual_add_f32 v34, v41, v36
	v_sub_f32_e32 v36, v41, v36
	v_cmp_gt_i32_e64 s1, 32, v1
	v_add_f32_e32 v41, v50, v43
	v_dual_sub_f32 v43, v50, v43 :: v_dual_add_f32 v50, v57, v52
	v_sub_f32_e32 v52, v57, v52
	s_delay_alu instid0(VALU_DEP_4)
	v_cndmask_b32_e64 v1, v4, v1, s1
	v_add_f32_e32 v57, v72, v60
	v_sub_f32_e32 v60, v72, v60
	v_add_f32_e32 v72, v7, v3
	v_sub_f32_e32 v3, v7, v3
	v_dual_add_f32 v78, v29, v15 :: v_dual_lshlrev_b32 v1, 2, v1
	v_add_f32_e32 v7, v14, v9
	v_sub_f32_e32 v9, v14, v9
	v_add_f32_e32 v14, v23, v17
	v_sub_f32_e32 v17, v23, v17
	;; [unrolled: 2-line block ×9, first 2 shown]
	v_and_b32_e32 v22, 1, v0
	ds_bpermute_b32 v76, v1, v59
	ds_bpermute_b32 v77, v1, v51
	;; [unrolled: 1-line block ×4, first 2 shown]
	v_cmp_eq_u32_e64 s1, 0, v22
	v_add_f32_e32 v22, v45, v31
	v_sub_f32_e32 v31, v45, v31
	ds_bpermute_b32 v84, v1, v6
	v_sub_f32_e32 v15, v29, v15
	v_cndmask_b32_e64 v45, -v59, v59, s1
	ds_bpermute_b32 v59, v1, v57
	v_cndmask_b32_e64 v51, -v51, v51, s1
	v_add_f32_e32 v29, v38, v32
	v_sub_f32_e32 v32, v38, v32
	v_add_f32_e32 v38, v54, v48
	ds_bpermute_b32 v80, v1, v56
	ds_bpermute_b32 v81, v1, v53
	v_sub_f32_e32 v48, v54, v48
	v_add_f32_e32 v54, v61, v47
	v_sub_f32_e32 v47, v61, v47
	v_cndmask_b32_e64 v56, -v56, v56, s1
	s_waitcnt lgkmcnt(0)
	v_add_f32_e32 v51, v51, v77
	ds_bpermute_b32 v61, v1, v2
	ds_bpermute_b32 v77, v1, v58
	v_cndmask_b32_e64 v58, -v58, v58, s1
	v_add_f32_e32 v45, v45, v76
	ds_bpermute_b32 v76, v1, v63
	v_cndmask_b32_e64 v57, -v57, v57, s1
	v_cndmask_b32_e64 v55, -v55, v55, s1
	v_cndmask_b32_e64 v60, -v60, v60, s1
	v_cndmask_b32_e64 v6, -v6, v6, s1
	ds_bpermute_b32 v83, v1, v72
	v_add_f32_e32 v57, v57, v59
	v_add_f32_e32 v55, v55, v79
	v_cndmask_b32_e64 v53, -v53, v53, s1
	v_add_f32_e32 v6, v6, v84
	ds_bpermute_b32 v84, v1, v18
	v_cndmask_b32_e64 v18, -v18, v18, s1
	v_add_f32_e32 v59, v60, v82
	v_cndmask_b32_e64 v60, -v63, v63, s1
	v_cndmask_b32_e64 v63, -v72, v72, s1
	ds_bpermute_b32 v72, v1, v62
	v_cndmask_b32_e64 v2, -v2, v2, s1
	v_add_f32_e32 v56, v56, v80
	ds_bpermute_b32 v79, v1, v8
	ds_bpermute_b32 v80, v1, v3
	;; [unrolled: 1-line block ×3, first 2 shown]
	s_waitcnt lgkmcnt(6)
	v_add_f32_e32 v60, v60, v76
	v_cndmask_b32_e64 v8, -v8, v8, s1
	v_add_f32_e32 v61, v2, v61
	v_cndmask_b32_e64 v2, -v62, v62, s1
	v_add_f32_e32 v53, v53, v81
	ds_bpermute_b32 v81, v1, v11
	v_cndmask_b32_e64 v62, -v73, v73, s1
	ds_bpermute_b32 v73, v1, v74
	ds_bpermute_b32 v76, v1, v7
	v_add_f32_e32 v58, v58, v77
	ds_bpermute_b32 v77, v1, v13
	v_cndmask_b32_e64 v3, -v3, v3, s1
	v_cndmask_b32_e64 v11, -v11, v11, s1
	;; [unrolled: 1-line block ×3, first 2 shown]
	s_waitcnt lgkmcnt(7)
	v_add_f32_e32 v72, v2, v72
	v_cndmask_b32_e64 v2, -v74, v74, s1
	ds_bpermute_b32 v74, v1, v9
	s_waitcnt lgkmcnt(7)
	v_add_f32_e32 v8, v8, v79
	ds_bpermute_b32 v79, v1, v16
	v_cndmask_b32_e64 v13, -v13, v13, s1
	s_waitcnt lgkmcnt(6)
	v_dual_add_f32 v63, v63, v83 :: v_dual_add_f32 v62, v62, v82
	ds_bpermute_b32 v83, v1, v5
	ds_bpermute_b32 v82, v1, v14
	v_add_f32_e32 v18, v18, v84
	v_cndmask_b32_e64 v14, -v14, v14, s1
	ds_bpermute_b32 v84, v1, v15
	v_cndmask_b32_e64 v5, -v5, v5, s1
	s_waitcnt lgkmcnt(6)
	v_add_f32_e32 v7, v7, v76
	ds_bpermute_b32 v76, v1, v12
	v_cndmask_b32_e64 v12, -v12, v12, s1
	v_add_f32_e32 v73, v2, v73
	v_cndmask_b32_e64 v2, -v9, v9, s1
	v_add_f32_e32 v3, v3, v80
	ds_bpermute_b32 v80, v1, v10
	v_cndmask_b32_e64 v9, -v16, v16, s1
	v_cndmask_b32_e64 v10, -v10, v10, s1
	s_waitcnt lgkmcnt(6)
	v_dual_add_f32 v74, v2, v74 :: v_dual_add_f32 v11, v11, v81
	ds_bpermute_b32 v81, v1, v75
	v_cndmask_b32_e64 v16, -v75, v75, s1
	ds_bpermute_b32 v75, v1, v78
	s_waitcnt lgkmcnt(5)
	v_dual_add_f32 v13, v13, v77 :: v_dual_add_f32 v14, v14, v82
	ds_bpermute_b32 v77, v1, v20
	v_cndmask_b32_e64 v2, -v78, v78, s1
	ds_bpermute_b32 v78, v1, v19
	v_cndmask_b32_e64 v20, -v20, v20, s1
	v_cndmask_b32_e64 v15, -v15, v15, s1
	s_waitcnt lgkmcnt(5)
	v_add_f32_e32 v12, v12, v76
	ds_bpermute_b32 v76, v1, v24
	v_cndmask_b32_e64 v24, -v24, v24, s1
	v_add_f32_e32 v5, v5, v83
	ds_bpermute_b32 v83, v1, v17
	s_waitcnt lgkmcnt(6)
	v_add_f32_e32 v10, v10, v80
	ds_bpermute_b32 v80, v1, v23
	ds_bpermute_b32 v82, v1, v21
	v_add_f32_e32 v15, v15, v84
	ds_bpermute_b32 v84, v1, v34
	s_waitcnt lgkmcnt(8)
	v_add_f32_e32 v16, v16, v81
	ds_bpermute_b32 v81, v1, v29
	s_waitcnt lgkmcnt(8)
	v_add_f32_e32 v75, v2, v75
	v_cndmask_b32_e64 v2, -v19, v19, s1
	v_add_f32_e32 v9, v9, v79
	ds_bpermute_b32 v79, v1, v25
	v_cndmask_b32_e64 v19, -v25, v25, s1
	v_cndmask_b32_e64 v25, -v29, v29, s1
	s_waitcnt lgkmcnt(7)
	v_add_f32_e32 v78, v2, v78
	ds_bpermute_b32 v29, v1, v27
	v_add_f32_e32 v20, v20, v77
	ds_bpermute_b32 v77, v1, v32
	v_cndmask_b32_e64 v2, -v27, v27, s1
	v_cndmask_b32_e64 v27, -v32, v32, s1
	;; [unrolled: 1-line block ×3, first 2 shown]
	ds_bpermute_b32 v34, v1, v30
	v_cndmask_b32_e64 v23, -v23, v23, s1
	v_cndmask_b32_e64 v17, -v17, v17, s1
	;; [unrolled: 1-line block ×3, first 2 shown]
	s_waitcnt lgkmcnt(9)
	v_add_f32_e32 v24, v24, v76
	ds_bpermute_b32 v76, v1, v35
	s_waitcnt lgkmcnt(6)
	v_dual_add_f32 v32, v32, v84 :: v_dual_add_f32 v17, v17, v83
	ds_bpermute_b32 v83, v1, v26
	v_cndmask_b32_e64 v26, -v26, v26, s1
	ds_bpermute_b32 v84, v1, v38
	v_cndmask_b32_e64 v38, -v38, v38, s1
	s_waitcnt lgkmcnt(0)
	s_barrier
	v_add_f32_e32 v29, v2, v29
	v_cndmask_b32_e64 v2, -v30, v30, s1
	v_add_f32_e32 v19, v19, v79
	ds_bpermute_b32 v79, v1, v22
	v_cndmask_b32_e64 v22, -v22, v22, s1
	v_add_f32_e32 v23, v23, v80
	ds_bpermute_b32 v80, v1, v28
	;; [unrolled: 3-line block ×3, first 2 shown]
	v_cndmask_b32_e64 v30, -v36, v36, s1
	ds_bpermute_b32 v36, v1, v31
	v_add_f32_e32 v21, v21, v82
	ds_bpermute_b32 v82, v1, v33
	v_add_f32_e32 v34, v2, v34
	v_cndmask_b32_e64 v2, -v31, v31, s1
	v_add_f32_e32 v27, v27, v77
	ds_bpermute_b32 v77, v1, v41
	v_cndmask_b32_e64 v31, -v35, v35, s1
	ds_bpermute_b32 v35, v1, v37
	v_cndmask_b32_e64 v33, -v33, v33, s1
	v_cndmask_b32_e64 v41, -v41, v41, s1
	v_add_f32_e32 v26, v26, v83
	s_waitcnt lgkmcnt(6)
	v_add_f32_e32 v22, v22, v79
	ds_bpermute_b32 v79, v1, v43
	ds_bpermute_b32 v83, v1, v39
	s_waitcnt lgkmcnt(7)
	v_add_f32_e32 v28, v28, v80
	ds_bpermute_b32 v80, v1, v40
	v_cndmask_b32_e64 v43, -v43, v43, s1
	s_waitcnt lgkmcnt(7)
	v_add_f32_e32 v30, v30, v81
	ds_bpermute_b32 v81, v1, v48
	s_waitcnt lgkmcnt(7)
	v_add_f32_e32 v36, v2, v36
	v_cndmask_b32_e64 v2, -v37, v37, s1
	ds_bpermute_b32 v37, v1, v50
	s_waitcnt lgkmcnt(7)
	v_dual_add_f32 v33, v33, v82 :: v_dual_add_f32 v38, v38, v84
	ds_bpermute_b32 v82, v1, v42
	v_cndmask_b32_e64 v48, -v48, v48, s1
	v_add_f32_e32 v31, v31, v76
	ds_bpermute_b32 v76, v1, v46
	v_cndmask_b32_e64 v42, -v42, v42, s1
	s_waitcnt lgkmcnt(8)
	v_add_f32_e32 v41, v41, v77
	v_xor_b32_e32 v77, 2, v4
	v_cndmask_b32_e64 v40, -v40, v40, s1
	v_cndmask_b32_e64 v39, -v39, v39, s1
	;; [unrolled: 1-line block ×3, first 2 shown]
	s_waitcnt lgkmcnt(0)
	buffer_gl0_inv
	v_cmp_gt_i32_e64 s8, 32, v77
	v_add_f32_e32 v40, v40, v80
	ds_bpermute_b32 v80, v1, v52
	v_dual_add_f32 v39, v39, v83 :: v_dual_add_f32 v48, v48, v81
	v_cndmask_b32_e64 v77, v4, v77, s8
	v_add_f32_e32 v35, v2, v35
	v_cndmask_b32_e64 v2, -v50, v50, s1
	ds_bpermute_b32 v50, v1, v54
	v_cndmask_b32_e64 v54, -v54, v54, s1
	v_add_f32_e32 v43, v43, v79
	ds_bpermute_b32 v79, v1, v44
	v_cndmask_b32_e64 v44, -v44, v44, s1
	v_add_f32_e32 v37, v2, v37
	v_lshlrev_b32_e32 v2, 2, v77
	ds_bpermute_b32 v81, v1, v49
	v_add_f32_e32 v46, v46, v76
	ds_bpermute_b32 v76, v1, v47
	v_and_b32_e32 v77, 2, v0
	ds_bpermute_b32 v83, v2, v51
	v_cndmask_b32_e64 v52, -v52, v52, s1
	v_add_f32_e32 v42, v42, v82
	v_cndmask_b32_e64 v49, -v49, v49, s1
	v_cmp_eq_u32_e64 s8, 0, v77
	ds_bpermute_b32 v82, v2, v45
	ds_bpermute_b32 v84, v2, v57
	;; [unrolled: 1-line block ×3, first 2 shown]
	s_waitcnt lgkmcnt(8)
	v_add_f32_e32 v52, v52, v80
	s_waitcnt lgkmcnt(7)
	v_add_f32_e32 v50, v54, v50
	v_cndmask_b32_e64 v54, -v57, v57, s8
	ds_bpermute_b32 v57, v2, v56
	s_waitcnt lgkmcnt(7)
	v_add_f32_e32 v44, v44, v79
	ds_bpermute_b32 v77, v2, v53
	ds_bpermute_b32 v79, v2, v59
	;; [unrolled: 1-line block ×3, first 2 shown]
	s_waitcnt lgkmcnt(9)
	v_add_f32_e32 v49, v49, v81
	v_cndmask_b32_e64 v47, -v47, v47, s1
	v_cndmask_b32_e64 v51, -v51, v51, s8
	ds_bpermute_b32 v81, v2, v60
	v_cndmask_b32_e64 v60, -v60, v60, s8
	v_cndmask_b32_e64 v45, -v45, v45, s8
	s_waitcnt lgkmcnt(9)
	v_add_f32_e32 v47, v47, v76
	ds_bpermute_b32 v76, v2, v58
	v_cndmask_b32_e64 v58, -v58, v58, s8
	s_waitcnt lgkmcnt(9)
	v_add_f32_e32 v51, v51, v83
	ds_bpermute_b32 v83, v2, v6
	v_cndmask_b32_e64 v55, -v55, v55, s8
	v_cndmask_b32_e64 v56, -v56, v56, s8
	;; [unrolled: 1-line block ×5, first 2 shown]
	s_waitcnt lgkmcnt(8)
	v_dual_add_f32 v45, v45, v82 :: v_dual_add_f32 v54, v54, v84
	ds_bpermute_b32 v82, v2, v63
	ds_bpermute_b32 v84, v2, v72
	s_waitcnt lgkmcnt(8)
	v_add_f32_e32 v56, v56, v57
	v_cndmask_b32_e64 v6, -v6, v6, s8
	v_add_f32_e32 v55, v55, v85
	ds_bpermute_b32 v85, v2, v8
	v_cndmask_b32_e64 v8, -v8, v8, s8
	s_waitcnt lgkmcnt(7)
	v_add_f32_e32 v57, v59, v79
	ds_bpermute_b32 v79, v2, v62
	v_cndmask_b32_e64 v62, -v62, v62, s8
	s_waitcnt lgkmcnt(7)
	v_add_f32_e32 v59, v61, v80
	v_cndmask_b32_e64 v61, -v63, v63, s8
	v_cndmask_b32_e64 v63, -v72, v72, s8
	ds_bpermute_b32 v72, v2, v3
	v_cndmask_b32_e64 v3, -v3, v3, s8
	v_add_f32_e32 v53, v53, v77
	ds_bpermute_b32 v77, v2, v11
	s_waitcnt lgkmcnt(8)
	v_add_f32_e32 v60, v60, v81
	ds_bpermute_b32 v80, v2, v73
	ds_bpermute_b32 v81, v2, v7
	s_waitcnt lgkmcnt(9)
	v_add_f32_e32 v58, v58, v76
	s_waitcnt lgkmcnt(8)
	v_add_f32_e32 v6, v6, v83
	ds_bpermute_b32 v76, v2, v13
	ds_bpermute_b32 v83, v2, v18
	v_cndmask_b32_e64 v11, -v11, v11, s8
	v_cndmask_b32_e64 v73, -v73, v73, s8
	;; [unrolled: 1-line block ×3, first 2 shown]
	s_waitcnt lgkmcnt(7)
	v_add_f32_e32 v8, v8, v85
	s_waitcnt lgkmcnt(6)
	v_add_f32_e32 v62, v62, v79
	ds_bpermute_b32 v79, v2, v14
	v_cndmask_b32_e64 v14, -v14, v14, s8
	ds_bpermute_b32 v85, v2, v9
	v_cndmask_b32_e64 v9, -v9, v9, s8
	s_waitcnt lgkmcnt(7)
	v_add_f32_e32 v72, v3, v72
	v_cndmask_b32_e64 v3, -v13, v13, s8
	v_add_f32_e32 v61, v61, v82
	ds_bpermute_b32 v82, v2, v5
	v_cndmask_b32_e64 v13, -v18, v18, s8
	v_cndmask_b32_e64 v18, -v74, v74, s8
	s_waitcnt lgkmcnt(7)
	v_add_f32_e32 v11, v11, v77
	ds_bpermute_b32 v77, v2, v16
	v_add_f32_e32 v63, v63, v84
	ds_bpermute_b32 v84, v2, v74
	ds_bpermute_b32 v74, v2, v10
	s_waitcnt lgkmcnt(8)
	v_add_f32_e32 v7, v7, v81
	ds_bpermute_b32 v81, v2, v12
	s_waitcnt lgkmcnt(8)
	v_add_f32_e32 v76, v3, v76
	v_cndmask_b32_e64 v3, -v10, v10, s8
	v_add_f32_e32 v73, v73, v80
	ds_bpermute_b32 v80, v2, v75
	v_cndmask_b32_e64 v10, -v16, v16, s8
	v_cndmask_b32_e64 v16, -v75, v75, s8
	;; [unrolled: 1-line block ×3, first 2 shown]
	s_waitcnt lgkmcnt(8)
	v_add_f32_e32 v13, v13, v83
	ds_bpermute_b32 v75, v2, v20
	ds_bpermute_b32 v83, v2, v15
	v_cndmask_b32_e64 v5, -v5, v5, s8
	s_waitcnt lgkmcnt(9)
	v_add_f32_e32 v14, v14, v79
	ds_bpermute_b32 v79, v2, v21
	v_cndmask_b32_e64 v15, -v15, v15, s8
	s_waitcnt lgkmcnt(7)
	v_dual_add_f32 v10, v10, v77 :: v_dual_add_f32 v5, v5, v82
	s_waitcnt lgkmcnt(6)
	v_add_f32_e32 v18, v18, v84
	ds_bpermute_b32 v82, v2, v17
	ds_bpermute_b32 v84, v2, v78
	;; [unrolled: 1-line block ×3, first 2 shown]
	s_waitcnt lgkmcnt(8)
	v_add_f32_e32 v74, v3, v74
	v_cndmask_b32_e64 v3, -v20, v20, s8
	s_waitcnt lgkmcnt(7)
	v_add_f32_e32 v12, v12, v81
	s_waitcnt lgkmcnt(6)
	v_add_f32_e32 v16, v16, v80
	v_cndmask_b32_e64 v20, -v78, v78, s8
	ds_bpermute_b32 v78, v2, v25
	ds_bpermute_b32 v80, v2, v29
	;; [unrolled: 1-line block ×3, first 2 shown]
	v_cndmask_b32_e64 v24, -v24, v24, s8
	s_waitcnt lgkmcnt(8)
	v_add_f32_e32 v75, v3, v75
	s_waitcnt lgkmcnt(7)
	v_add_f32_e32 v15, v15, v83
	v_cndmask_b32_e64 v3, -v23, v23, s8
	v_cndmask_b32_e64 v23, -v25, v25, s8
	;; [unrolled: 1-line block ×3, first 2 shown]
	ds_bpermute_b32 v29, v2, v27
	ds_bpermute_b32 v83, v2, v32
	v_cndmask_b32_e64 v17, -v17, v17, s8
	v_cndmask_b32_e64 v21, -v21, v21, s8
	s_waitcnt lgkmcnt(6)
	v_dual_add_f32 v9, v9, v85 :: v_dual_add_f32 v20, v20, v84
	ds_bpermute_b32 v84, v2, v34
	ds_bpermute_b32 v85, v2, v19
	v_add_f32_e32 v21, v21, v79
	ds_bpermute_b32 v79, v2, v33
	s_waitcnt lgkmcnt(8)
	v_add_f32_e32 v77, v3, v77
	v_cndmask_b32_e64 v3, -v27, v27, s8
	v_cndmask_b32_e64 v27, -v32, v32, s8
	;; [unrolled: 1-line block ×3, first 2 shown]
	v_add_f32_e32 v17, v17, v82
	ds_bpermute_b32 v82, v2, v26
	ds_bpermute_b32 v34, v2, v28
	s_waitcnt lgkmcnt(7)
	v_dual_add_f32 v23, v23, v78 :: v_dual_add_f32 v24, v24, v81
	ds_bpermute_b32 v78, v2, v30
	ds_bpermute_b32 v81, v2, v31
	s_waitcnt lgkmcnt(7)
	v_add_f32_e32 v27, v27, v83
	ds_bpermute_b32 v83, v2, v38
	v_cndmask_b32_e64 v38, -v38, v38, s8
	v_add_f32_e32 v25, v25, v80
	ds_bpermute_b32 v80, v2, v36
	v_cndmask_b32_e64 v36, -v36, v36, s8
	v_add_f32_e32 v29, v3, v29
	v_cndmask_b32_e64 v3, -v28, v28, s8
	v_cndmask_b32_e64 v28, -v30, v30, s8
	;; [unrolled: 1-line block ×3, first 2 shown]
	ds_bpermute_b32 v33, v2, v41
	v_cndmask_b32_e64 v26, -v26, v26, s8
	v_cndmask_b32_e64 v19, -v19, v19, s8
	;; [unrolled: 1-line block ×3, first 2 shown]
	s_waitcnt lgkmcnt(9)
	v_add_f32_e32 v32, v32, v84
	s_waitcnt lgkmcnt(5)
	v_add_f32_e32 v34, v3, v34
	v_add_f32_e32 v26, v26, v82
	ds_bpermute_b32 v82, v2, v39
	v_cndmask_b32_e64 v3, -v41, v41, s8
	s_waitcnt lgkmcnt(5)
	v_dual_add_f32 v19, v19, v85 :: v_dual_add_f32 v28, v28, v78
	ds_bpermute_b32 v84, v2, v35
	v_add_f32_e32 v30, v30, v79
	ds_bpermute_b32 v41, v2, v40
	ds_bpermute_b32 v78, v2, v48
	;; [unrolled: 1-line block ×3, first 2 shown]
	v_cndmask_b32_e64 v42, -v42, v42, s8
	s_waitcnt lgkmcnt(8)
	v_add_f32_e32 v31, v31, v81
	ds_bpermute_b32 v81, v2, v50
	v_cndmask_b32_e64 v39, -v39, v39, s8
	s_waitcnt lgkmcnt(6)
	v_add_f32_e32 v33, v3, v33
	v_cndmask_b32_e64 v3, -v40, v40, s8
	v_cndmask_b32_e64 v40, -v48, v48, s8
	ds_bpermute_b32 v48, v2, v37
	ds_bpermute_b32 v85, v2, v22
	v_add_f32_e32 v36, v36, v80
	ds_bpermute_b32 v80, v2, v46
	v_cndmask_b32_e64 v46, -v46, v46, s8
	s_waitcnt lgkmcnt(8)
	v_add_f32_e32 v39, v39, v82
	v_xor_b32_e32 v82, 4, v4
	v_cndmask_b32_e64 v35, -v35, v35, s8
	v_cndmask_b32_e64 v37, -v37, v37, s8
	;; [unrolled: 1-line block ×4, first 2 shown]
	v_cmp_gt_i32_e64 s9, 32, v82
	s_waitcnt lgkmcnt(5)
	v_dual_add_f32 v35, v35, v84 :: v_dual_add_f32 v40, v40, v78
	ds_bpermute_b32 v78, v2, v52
	v_add_f32_e32 v38, v38, v83
	ds_bpermute_b32 v83, v2, v44
	v_and_b32_e32 v84, 4, v0
	v_cndmask_b32_e64 v44, -v44, v44, s8
	s_waitcnt lgkmcnt(4)
	v_dual_add_f32 v42, v42, v79 :: v_dual_add_f32 v37, v37, v48
	v_add_f32_e32 v48, v50, v81
	v_cndmask_b32_e64 v50, -v52, v52, s8
	v_add_f32_e32 v41, v3, v41
	v_cndmask_b32_e64 v3, v4, v82, s9
	s_waitcnt lgkmcnt(3)
	v_add_f32_e32 v22, v22, v85
	ds_bpermute_b32 v85, v2, v43
	v_cmp_eq_u32_e64 s9, 0, v84
	v_cndmask_b32_e64 v43, -v43, v43, s8
	v_lshlrev_b32_e32 v3, 2, v3
	ds_bpermute_b32 v79, v2, v49
	ds_bpermute_b32 v82, v2, v47
	s_waitcnt lgkmcnt(5)
	v_add_f32_e32 v46, v46, v80
	v_cndmask_b32_e64 v49, -v49, v49, s8
	ds_bpermute_b32 v52, v3, v54
	v_cndmask_b32_e64 v54, -v54, v54, s9
	s_waitcnt lgkmcnt(4)
	v_add_f32_e32 v44, v44, v83
	v_cndmask_b32_e64 v47, -v47, v47, s8
	s_waitcnt lgkmcnt(3)
	v_dual_add_f32 v50, v50, v78 :: v_dual_add_f32 v43, v43, v85
	s_waitcnt lgkmcnt(0)
	v_add_f32_e32 v52, v54, v52
	ds_bpermute_b32 v85, v3, v45
	ds_bpermute_b32 v86, v3, v51
	;; [unrolled: 1-line block ×6, first 2 shown]
	v_cndmask_b32_e64 v45, -v45, v45, s9
	v_cndmask_b32_e64 v51, -v51, v51, s9
	;; [unrolled: 1-line block ×6, first 2 shown]
	v_add_f32_e32 v49, v49, v79
	v_add_f32_e32 v47, v47, v82
	ds_bpermute_b32 v78, v3, v59
	ds_bpermute_b32 v79, v3, v60
	;; [unrolled: 1-line block ×3, first 2 shown]
	v_cndmask_b32_e64 v58, -v58, v58, s9
	s_waitcnt lgkmcnt(5)
	v_dual_add_f32 v54, v55, v80 :: v_dual_add_f32 v55, v56, v81
	ds_bpermute_b32 v80, v3, v8
	s_waitcnt lgkmcnt(4)
	v_add_f32_e32 v56, v57, v84
	v_cndmask_b32_e64 v57, -v59, v59, s9
	v_cndmask_b32_e64 v59, -v60, v60, s9
	;; [unrolled: 1-line block ×3, first 2 shown]
	v_add_f32_e32 v51, v51, v86
	ds_bpermute_b32 v86, v3, v6
	v_cndmask_b32_e64 v6, -v6, v6, s9
	v_add_f32_e32 v45, v45, v85
	ds_bpermute_b32 v85, v3, v61
	ds_bpermute_b32 v61, v3, v63
	;; [unrolled: 1-line block ×4, first 2 shown]
	v_cndmask_b32_e64 v8, -v8, v8, s9
	v_add_f32_e32 v53, v53, v83
	ds_bpermute_b32 v83, v3, v11
	v_cndmask_b32_e64 v63, -v63, v63, s9
	v_cndmask_b32_e64 v72, -v72, v72, s9
	;; [unrolled: 1-line block ×4, first 2 shown]
	s_waitcnt lgkmcnt(6)
	v_dual_add_f32 v8, v8, v80 :: v_dual_add_f32 v57, v57, v78
	ds_bpermute_b32 v78, v3, v73
	v_add_f32_e32 v58, v58, v82
	ds_bpermute_b32 v82, v3, v76
	ds_bpermute_b32 v80, v3, v9
	s_waitcnt lgkmcnt(8)
	v_add_f32_e32 v6, v6, v86
	ds_bpermute_b32 v86, v3, v13
	v_cndmask_b32_e64 v9, -v9, v9, s9
	s_waitcnt lgkmcnt(8)
	v_add_f32_e32 v60, v60, v85
	ds_bpermute_b32 v85, v3, v5
	v_cndmask_b32_e64 v5, -v5, v5, s9
	;; [unrolled: 4-line block ×4, first 2 shown]
	v_add_f32_e32 v61, v63, v61
	v_add_f32_e32 v63, v72, v81
	v_cndmask_b32_e64 v72, -v73, v73, s9
	v_add_f32_e32 v59, v59, v79
	ds_bpermute_b32 v79, v3, v7
	v_cndmask_b32_e64 v73, -v76, v76, s9
	ds_bpermute_b32 v76, v3, v18
	s_waitcnt lgkmcnt(8)
	v_add_f32_e32 v72, v72, v78
	ds_bpermute_b32 v81, v3, v74
	v_cndmask_b32_e64 v7, -v7, v7, s9
	v_cndmask_b32_e64 v18, -v18, v18, s9
	ds_bpermute_b32 v78, v3, v16
	v_cndmask_b32_e64 v16, -v16, v16, s9
	v_cndmask_b32_e64 v74, -v74, v74, s9
	;; [unrolled: 1-line block ×3, first 2 shown]
	s_waitcnt lgkmcnt(5)
	v_add_f32_e32 v14, v14, v84
	ds_bpermute_b32 v84, v3, v21
	v_cndmask_b32_e64 v21, -v21, v21, s9
	s_waitcnt lgkmcnt(5)
	v_add_f32_e32 v10, v10, v83
	ds_bpermute_b32 v83, v3, v23
	v_cndmask_b32_e64 v23, -v23, v23, s9
	s_waitcnt lgkmcnt(5)
	v_add_f32_e32 v7, v7, v79
	ds_bpermute_b32 v79, v3, v12
	s_waitcnt lgkmcnt(5)
	v_add_f32_e32 v18, v18, v76
	ds_bpermute_b32 v76, v3, v20
	v_cndmask_b32_e64 v20, -v20, v20, s9
	v_add_f32_e32 v5, v5, v85
	ds_bpermute_b32 v85, v3, v17
	s_waitcnt lgkmcnt(6)
	v_add_f32_e32 v74, v74, v81
	v_cndmask_b32_e64 v12, -v12, v12, s9
	v_add_f32_e32 v73, v73, v82
	ds_bpermute_b32 v82, v3, v75
	ds_bpermute_b32 v81, v3, v77
	v_cndmask_b32_e64 v17, -v17, v17, s9
	s_waitcnt lgkmcnt(7)
	v_add_f32_e32 v16, v16, v78
	ds_bpermute_b32 v78, v3, v25
	v_cndmask_b32_e64 v75, -v75, v75, s9
	v_cndmask_b32_e64 v77, -v77, v77, s9
	;; [unrolled: 1-line block ×3, first 2 shown]
	s_waitcnt lgkmcnt(5)
	v_add_f32_e32 v12, v12, v79
	ds_bpermute_b32 v79, v3, v24
	s_waitcnt lgkmcnt(5)
	v_add_f32_e32 v20, v20, v76
	v_cndmask_b32_e64 v24, -v24, v24, s9
	v_add_f32_e32 v13, v13, v86
	s_waitcnt lgkmcnt(4)
	v_add_f32_e32 v17, v17, v85
	ds_bpermute_b32 v85, v3, v26
	v_cndmask_b32_e64 v26, -v26, v26, s9
	v_add_f32_e32 v9, v9, v80
	ds_bpermute_b32 v80, v3, v19
	s_waitcnt lgkmcnt(4)
	v_dual_add_f32 v75, v75, v82 :: v_dual_add_f32 v76, v77, v81
	ds_bpermute_b32 v81, v3, v34
	v_cndmask_b32_e64 v19, -v19, v19, s9
	v_cndmask_b32_e64 v34, -v34, v34, s9
	ds_bpermute_b32 v86, v3, v15
	ds_bpermute_b32 v77, v3, v32
	v_cndmask_b32_e64 v15, -v15, v15, s9
	v_cndmask_b32_e64 v32, -v32, v32, s9
	ds_bpermute_b32 v82, v3, v29
	v_cndmask_b32_e64 v29, -v29, v29, s9
	s_waitcnt lgkmcnt(6)
	v_add_f32_e32 v24, v24, v79
	ds_bpermute_b32 v79, v3, v36
	v_cndmask_b32_e64 v36, -v36, v36, s9
	v_add_f32_e32 v25, v25, v78
	ds_bpermute_b32 v78, v3, v30
	v_cndmask_b32_e64 v30, -v30, v30, s9
	s_waitcnt lgkmcnt(7)
	v_dual_add_f32 v23, v23, v83 :: v_dual_add_f32 v26, v26, v85
	s_waitcnt lgkmcnt(6)
	v_add_f32_e32 v19, v19, v80
	ds_bpermute_b32 v80, v3, v22
	v_cndmask_b32_e64 v22, -v22, v22, s9
	s_waitcnt lgkmcnt(6)
	v_add_f32_e32 v34, v34, v81
	ds_bpermute_b32 v81, v3, v43
	ds_bpermute_b32 v85, v3, v39
	v_cndmask_b32_e64 v43, -v43, v43, s9
	s_waitcnt lgkmcnt(6)
	v_dual_add_f32 v15, v15, v86 :: v_dual_add_f32 v32, v32, v77
	ds_bpermute_b32 v86, v3, v27
	ds_bpermute_b32 v83, v3, v28
	;; [unrolled: 1-line block ×3, first 2 shown]
	v_cndmask_b32_e64 v28, -v28, v28, s9
	v_add_f32_e32 v21, v21, v84
	ds_bpermute_b32 v84, v3, v33
	v_cndmask_b32_e64 v39, -v39, v39, s9
	s_waitcnt lgkmcnt(7)
	v_add_f32_e32 v30, v30, v78
	ds_bpermute_b32 v78, v3, v42
	v_cndmask_b32_e64 v42, -v42, v42, s9
	v_cndmask_b32_e64 v27, -v27, v27, s9
	;; [unrolled: 1-line block ×3, first 2 shown]
	s_waitcnt lgkmcnt(7)
	v_add_f32_e32 v22, v22, v80
	ds_bpermute_b32 v80, v3, v35
	v_cndmask_b32_e64 v35, -v35, v35, s9
	s_waitcnt lgkmcnt(7)
	v_add_f32_e32 v43, v43, v81
	v_xor_b32_e32 v81, 8, v4
	s_waitcnt lgkmcnt(6)
	v_add_f32_e32 v39, v39, v85
	v_add_f32_e32 v29, v29, v82
	ds_bpermute_b32 v82, v3, v31
	s_waitcnt lgkmcnt(6)
	v_add_f32_e32 v27, v27, v86
	v_cmp_gt_i32_e64 s10, 32, v81
	s_waitcnt lgkmcnt(5)
	v_add_f32_e32 v28, v28, v83
	ds_bpermute_b32 v83, v3, v41
	ds_bpermute_b32 v86, v3, v40
	v_cndmask_b32_e64 v33, -v33, v33, s9
	v_add_f32_e32 v36, v36, v79
	ds_bpermute_b32 v79, v3, v37
	s_waitcnt lgkmcnt(5)
	v_add_f32_e32 v42, v42, v78
	v_cndmask_b32_e64 v78, v4, v81, s10
	v_add_f32_e32 v38, v38, v77
	ds_bpermute_b32 v77, v3, v46
	v_cndmask_b32_e64 v40, -v40, v40, s9
	s_waitcnt lgkmcnt(5)
	v_dual_add_f32 v35, v35, v80 :: v_dual_lshlrev_b32 v78, 2, v78
	ds_bpermute_b32 v80, v3, v48
	v_add_f32_e32 v33, v33, v84
	v_and_b32_e32 v84, 8, v0
	v_cndmask_b32_e64 v31, -v31, v31, s9
	ds_bpermute_b32 v85, v78, v45
	v_cndmask_b32_e64 v41, -v41, v41, s9
	v_cndmask_b32_e64 v37, -v37, v37, s9
	v_cmp_eq_u32_e64 s10, 0, v84
	v_cndmask_b32_e64 v46, -v46, v46, s9
	s_waitcnt lgkmcnt(4)
	v_add_f32_e32 v40, v40, v86
	v_cndmask_b32_e64 v48, -v48, v48, s9
	v_add_f32_e32 v31, v31, v82
	v_cndmask_b32_e64 v45, -v45, v45, s10
	ds_bpermute_b32 v82, v3, v44
	v_cndmask_b32_e64 v44, -v44, v44, s9
	v_add_f32_e32 v41, v41, v83
	ds_bpermute_b32 v83, v3, v50
	ds_bpermute_b32 v81, v3, v47
	;; [unrolled: 1-line block ×4, first 2 shown]
	s_waitcnt lgkmcnt(7)
	v_add_f32_e32 v46, v46, v77
	s_waitcnt lgkmcnt(6)
	v_add_f32_e32 v48, v48, v80
	v_cndmask_b32_e64 v52, -v52, v52, s10
	ds_bpermute_b32 v77, v78, v54
	ds_bpermute_b32 v80, v78, v55
	s_waitcnt lgkmcnt(7)
	v_add_f32_e32 v45, v45, v85
	v_cndmask_b32_e64 v54, -v54, v54, s10
	v_add_f32_e32 v37, v37, v79
	ds_bpermute_b32 v79, v3, v49
	ds_bpermute_b32 v85, v78, v60
	v_cndmask_b32_e64 v50, -v50, v50, s9
	v_cndmask_b32_e64 v49, -v49, v49, s9
	v_cndmask_b32_e64 v47, -v47, v47, s9
	v_cndmask_b32_e64 v51, -v51, v51, s10
	v_cndmask_b32_e64 v55, -v55, v55, s10
	v_cndmask_b32_e64 v60, -v60, v60, s10
	s_waitcnt lgkmcnt(8)
	v_add_f32_e32 v44, v44, v82
	s_waitcnt lgkmcnt(6)
	v_dual_add_f32 v50, v50, v83 :: v_dual_add_f32 v47, v47, v81
	ds_bpermute_b32 v82, v78, v53
	ds_bpermute_b32 v83, v78, v56
	;; [unrolled: 1-line block ×3, first 2 shown]
	v_cndmask_b32_e64 v56, -v56, v56, s10
	s_waitcnt lgkmcnt(8)
	v_add_f32_e32 v51, v51, v86
	ds_bpermute_b32 v81, v78, v58
	ds_bpermute_b32 v86, v78, v6
	s_waitcnt lgkmcnt(7)
	v_add_f32_e32 v55, v55, v80
	v_cndmask_b32_e64 v58, -v58, v58, s10
	s_waitcnt lgkmcnt(6)
	v_add_f32_e32 v49, v49, v79
	ds_bpermute_b32 v79, v78, v59
	s_waitcnt lgkmcnt(6)
	v_add_f32_e32 v60, v60, v85
	ds_bpermute_b32 v85, v78, v5
	v_cndmask_b32_e64 v53, -v53, v53, s10
	v_cndmask_b32_e64 v57, -v57, v57, s10
	;; [unrolled: 1-line block ×5, first 2 shown]
	v_add_f32_e32 v52, v52, v87
	ds_bpermute_b32 v87, v78, v61
	v_add_f32_e32 v54, v54, v77
	s_waitcnt lgkmcnt(6)
	v_add_f32_e32 v56, v56, v83
	ds_bpermute_b32 v77, v78, v8
	ds_bpermute_b32 v80, v78, v63
	;; [unrolled: 1-line block ×3, first 2 shown]
	s_waitcnt lgkmcnt(7)
	v_add_f32_e32 v58, v58, v81
	v_cndmask_b32_e64 v61, -v61, v61, s10
	v_cndmask_b32_e64 v62, -v62, v62, s10
	ds_bpermute_b32 v81, v78, v73
	s_waitcnt lgkmcnt(6)
	v_add_f32_e32 v59, v59, v79
	s_waitcnt lgkmcnt(5)
	v_add_f32_e32 v85, v5, v85
	v_cndmask_b32_e64 v5, -v9, v9, s10
	v_add_f32_e32 v79, v6, v86
	v_cndmask_b32_e64 v6, -v8, v8, s10
	v_cndmask_b32_e64 v8, -v63, v63, s10
	v_add_f32_e32 v53, v53, v82
	ds_bpermute_b32 v82, v78, v11
	v_cndmask_b32_e64 v11, -v11, v11, s10
	v_add_f32_e32 v57, v57, v84
	ds_bpermute_b32 v84, v78, v72
	v_cndmask_b32_e64 v63, -v72, v72, s10
	ds_bpermute_b32 v72, v78, v7
	ds_bpermute_b32 v86, v78, v13
	s_waitcnt lgkmcnt(6)
	v_add_f32_e32 v80, v8, v80
	s_waitcnt lgkmcnt(5)
	v_add_f32_e32 v62, v62, v83
	v_cndmask_b32_e64 v8, -v13, v13, s10
	v_add_f32_e32 v61, v61, v87
	ds_bpermute_b32 v87, v78, v18
	ds_bpermute_b32 v13, v78, v9
	;; [unrolled: 1-line block ×3, first 2 shown]
	v_cndmask_b32_e64 v9, -v16, v16, s10
	s_waitcnt lgkmcnt(6)
	v_add_f32_e32 v82, v11, v82
	v_cndmask_b32_e64 v11, -v18, v18, s10
	ds_bpermute_b32 v18, v78, v74
	s_waitcnt lgkmcnt(6)
	v_add_f32_e32 v63, v63, v84
	ds_bpermute_b32 v84, v78, v16
	v_add_f32_e32 v77, v6, v77
	v_cndmask_b32_e64 v6, -v7, v7, s10
	v_cndmask_b32_e64 v7, -v73, v73, s10
	ds_bpermute_b32 v73, v78, v10
	s_waitcnt lgkmcnt(6)
	v_add_f32_e32 v86, v8, v86
	v_cndmask_b32_e64 v8, -v14, v14, s10
	v_add_f32_e32 v72, v6, v72
	v_cndmask_b32_e64 v6, -v74, v74, s10
	ds_bpermute_b32 v74, v78, v20
	ds_bpermute_b32 v16, v78, v15
	s_waitcnt lgkmcnt(6)
	v_add_f32_e32 v88, v5, v13
	ds_bpermute_b32 v13, v78, v76
	s_waitcnt lgkmcnt(6)
	v_add_f32_e32 v83, v8, v83
	v_cndmask_b32_e64 v8, -v15, v15, s10
	ds_bpermute_b32 v15, v78, v23
	ds_bpermute_b32 v14, v78, v17
	v_cndmask_b32_e64 v5, -v12, v12, s10
	s_waitcnt lgkmcnt(7)
	v_add_f32_e32 v89, v6, v18
	v_cndmask_b32_e64 v6, -v75, v75, s10
	s_waitcnt lgkmcnt(6)
	v_add_f32_e32 v84, v9, v84
	v_cndmask_b32_e64 v9, -v20, v20, s10
	v_add_f32_e32 v87, v11, v87
	ds_bpermute_b32 v11, v78, v75
	v_add_f32_e32 v81, v7, v81
	v_cndmask_b32_e64 v7, -v10, v10, s10
	ds_bpermute_b32 v10, v78, v12
	ds_bpermute_b32 v18, v78, v25
	;; [unrolled: 1-line block ×3, first 2 shown]
	s_waitcnt lgkmcnt(8)
	v_add_f32_e32 v74, v9, v74
	v_cndmask_b32_e64 v9, -v25, v25, s10
	v_add_f32_e32 v73, v7, v73
	v_cndmask_b32_e64 v7, -v17, v17, s10
	ds_bpermute_b32 v17, v78, v21
	s_waitcnt lgkmcnt(8)
	v_add_f32_e32 v16, v8, v16
	v_cndmask_b32_e64 v8, -v21, v21, s10
	ds_bpermute_b32 v20, v78, v32
	s_waitcnt lgkmcnt(5)
	v_add_f32_e32 v90, v6, v11
	ds_bpermute_b32 v11, v78, v29
	v_cndmask_b32_e64 v6, -v76, v76, s10
	s_waitcnt lgkmcnt(4)
	v_add_f32_e32 v94, v9, v18
	ds_bpermute_b32 v18, v78, v36
	v_cndmask_b32_e64 v9, -v32, v32, s10
	v_add_f32_e32 v76, v6, v13
	v_cndmask_b32_e64 v6, -v29, v29, s10
	ds_bpermute_b32 v13, v78, v34
	s_waitcnt lgkmcnt(4)
	v_add_f32_e32 v93, v8, v17
	v_cndmask_b32_e64 v8, -v27, v27, s10
	v_add_f32_e32 v75, v5, v10
	v_cndmask_b32_e64 v5, -v19, v19, s10
	ds_bpermute_b32 v19, v78, v27
	ds_bpermute_b32 v10, v78, v24
	;; [unrolled: 1-line block ×3, first 2 shown]
	s_waitcnt lgkmcnt(2)
	v_add_f32_e32 v96, v8, v19
	v_cndmask_b32_e64 v8, -v30, v30, s10
	v_add_f32_e32 v27, v6, v11
	v_cndmask_b32_e64 v6, -v34, v34, s10
	v_add_f32_e32 v25, v5, v12
	ds_bpermute_b32 v12, v78, v22
	v_add_f32_e32 v91, v7, v14
	ds_bpermute_b32 v14, v78, v26
	ds_bpermute_b32 v11, v78, v39
	v_cndmask_b32_e64 v7, -v23, v23, s10
	ds_bpermute_b32 v19, v78, v35
	v_add_f32_e32 v97, v9, v20
	ds_bpermute_b32 v9, v78, v31
	v_cndmask_b32_e64 v5, -v24, v24, s10
	v_add_f32_e32 v92, v7, v15
	v_cndmask_b32_e64 v7, -v26, v26, s10
	ds_bpermute_b32 v15, v78, v28
	v_cndmask_b32_e64 v20, -v36, v36, s10
	v_add_f32_e32 v98, v6, v13
	ds_bpermute_b32 v6, v78, v43
	v_cndmask_b32_e64 v13, -v39, v39, s10
	s_waitcnt lgkmcnt(8)
	v_add_f32_e32 v26, v5, v10
	v_cndmask_b32_e64 v5, -v22, v22, s10
	ds_bpermute_b32 v10, v78, v33
	v_add_f32_e32 v101, v20, v18
	s_waitcnt lgkmcnt(8)
	v_add_f32_e32 v100, v8, v17
	ds_bpermute_b32 v8, v78, v41
	s_waitcnt lgkmcnt(7)
	v_add_f32_e32 v95, v7, v14
	ds_bpermute_b32 v14, v78, v38
	;; [unrolled: 3-line block ×3, first 2 shown]
	v_cndmask_b32_e64 v7, -v28, v28, s10
	v_add_f32_e32 v28, v5, v12
	v_cndmask_b32_e64 v5, -v31, v31, s10
	ds_bpermute_b32 v17, v78, v42
	ds_bpermute_b32 v12, v78, v40
	;; [unrolled: 1-line block ×3, first 2 shown]
	v_cndmask_b32_e64 v18, -v35, v35, s10
	s_waitcnt lgkmcnt(9)
	v_add_f32_e32 v102, v5, v9
	v_cndmask_b32_e64 v5, -v43, v43, s10
	v_cndmask_b32_e64 v9, -v40, v40, s10
	s_waitcnt lgkmcnt(7)
	s_delay_alu instid0(VALU_DEP_2)
	v_dual_add_f32 v106, v18, v19 :: v_dual_add_f32 v107, v5, v6
	v_cndmask_b32_e64 v5, -v42, v42, s10
	v_add_f32_e32 v99, v7, v15
	v_cndmask_b32_e64 v7, -v33, v33, s10
	v_cndmask_b32_e64 v15, -v38, v38, s10
	;; [unrolled: 1-line block ×3, first 2 shown]
	s_waitcnt lgkmcnt(6)
	s_delay_alu instid0(VALU_DEP_3)
	v_add_f32_e32 v103, v7, v10
	ds_bpermute_b32 v10, v78, v37
	s_waitcnt lgkmcnt(4)
	v_add_f32_e32 v112, v6, v11
	v_cndmask_b32_e64 v6, -v44, v44, s10
	v_add_f32_e32 v105, v15, v14
	v_xor_b32_e32 v14, 16, v4
	v_cndmask_b32_e64 v7, -v41, v41, s10
	s_waitcnt lgkmcnt(3)
	v_add_f32_e32 v110, v5, v17
	v_cndmask_b32_e64 v5, -v37, v37, s10
	s_waitcnt lgkmcnt(2)
	v_add_f32_e32 v109, v9, v12
	v_cmp_gt_i32_e64 s11, 32, v14
	v_add_f32_e32 v108, v7, v8
	v_cndmask_b32_e64 v7, -v48, v48, s10
	ds_bpermute_b32 v8, v78, v50
	ds_bpermute_b32 v9, v78, v49
	v_cndmask_b32_e64 v4, v4, v14, s11
	ds_bpermute_b32 v12, v78, v47
	v_cndmask_b32_e64 v11, -v47, v47, s10
	v_lshlrev_b32_e32 v111, 2, v4
	ds_bpermute_b32 v4, v78, v44
	s_waitcnt lgkmcnt(4)
	v_add_f32_e32 v78, v5, v10
	v_cndmask_b32_e64 v10, -v49, v49, s10
	ds_bpermute_b32 v14, v111, v45
	v_add_f32_e32 v113, v7, v13
	ds_bpermute_b32 v13, v111, v51
	ds_bpermute_b32 v15, v111, v52
	v_and_b32_e32 v5, 16, v0
	ds_bpermute_b32 v19, v111, v53
	v_cndmask_b32_e64 v7, -v50, v50, s10
	ds_bpermute_b32 v17, v111, v54
	ds_bpermute_b32 v18, v111, v55
	v_cmp_eq_u32_e64 s10, 0, v5
	s_waitcnt lgkmcnt(8)
	v_add_f32_e32 v116, v10, v9
	ds_bpermute_b32 v10, v111, v56
	ds_bpermute_b32 v20, v111, v60
	ds_bpermute_b32 v29, v111, v82
	v_cndmask_b32_e64 v5, -v45, v45, s10
	v_cndmask_b32_e64 v9, -v53, v53, s10
	s_waitcnt lgkmcnt(9)
	v_add_f32_e32 v114, v6, v4
	ds_bpermute_b32 v22, v111, v61
	ds_bpermute_b32 v24, v111, v80
	s_waitcnt lgkmcnt(10)
	v_dual_add_f32 v115, v7, v8 :: v_dual_add_f32 v4, v5, v14
	v_cndmask_b32_e64 v5, -v51, v51, s10
	ds_bpermute_b32 v14, v111, v58
	v_cndmask_b32_e64 v7, -v54, v54, s10
	v_cndmask_b32_e64 v8, -v55, v55, s10
	s_waitcnt lgkmcnt(8)
	v_add_f32_e32 v9, v9, v19
	v_cndmask_b32_e64 v19, -v60, v60, s10
	v_add_f32_e32 v5, v5, v13
	v_cndmask_b32_e64 v13, -v56, v56, s10
	v_add_f32_e32 v117, v11, v12
	ds_bpermute_b32 v12, v111, v59
	ds_bpermute_b32 v11, v111, v57
	;; [unrolled: 1-line block ×3, first 2 shown]
	s_waitcnt lgkmcnt(8)
	v_add_f32_e32 v10, v13, v10
	ds_bpermute_b32 v23, v111, v77
	ds_bpermute_b32 v31, v111, v63
	;; [unrolled: 1-line block ×3, first 2 shown]
	v_cndmask_b32_e64 v6, -v52, v52, s10
	v_dual_add_f32 v7, v7, v17 :: v_dual_add_f32 v8, v8, v18
	v_cndmask_b32_e64 v17, -v59, v59, s10
	v_cndmask_b32_e64 v18, -v58, v58, s10
	ds_bpermute_b32 v30, v111, v62
	ds_bpermute_b32 v32, v111, v72
	;; [unrolled: 1-line block ×5, first 2 shown]
	v_add_f32_e32 v6, v6, v15
	v_cndmask_b32_e64 v15, -v57, v57, s10
	ds_bpermute_b32 v35, v111, v86
	s_waitcnt lgkmcnt(11)
	v_add_f32_e32 v12, v17, v12
	v_cndmask_b32_e64 v17, -v61, v61, s10
	ds_bpermute_b32 v37, v111, v88
	v_dual_add_f32 v13, v18, v14 :: v_dual_add_f32 v14, v19, v20
	v_cndmask_b32_e64 v19, -v80, v80, s10
	ds_bpermute_b32 v39, v111, v73
	ds_bpermute_b32 v43, v111, v90
	v_cndmask_b32_e64 v18, -v77, v77, s10
	v_cndmask_b32_e64 v20, -v82, v82, s10
	v_add_f32_e32 v17, v17, v22
	v_add_f32_e32 v19, v19, v24
	v_cndmask_b32_e64 v22, -v63, v63, s10
	v_cndmask_b32_e64 v24, -v81, v81, s10
	s_waitcnt lgkmcnt(13)
	v_add_f32_e32 v11, v15, v11
	v_cndmask_b32_e64 v15, -v79, v79, s10
	ds_bpermute_b32 v40, v111, v83
	ds_bpermute_b32 v42, v111, v75
	s_waitcnt lgkmcnt(11)
	v_add_f32_e32 v24, v24, v33
	ds_bpermute_b32 v44, v111, v91
	ds_bpermute_b32 v47, v111, v25
	;; [unrolled: 1-line block ×5, first 2 shown]
	v_dual_add_f32 v15, v15, v21 :: v_dual_add_f32 v18, v18, v23
	v_add_f32_e32 v20, v20, v29
	v_cndmask_b32_e64 v21, -v62, v62, s10
	v_cndmask_b32_e64 v23, -v72, v72, s10
	;; [unrolled: 1-line block ×3, first 2 shown]
	v_add_f32_e32 v22, v22, v31
	v_cndmask_b32_e64 v31, -v87, v87, s10
	v_cndmask_b32_e64 v33, -v89, v89, s10
	ds_bpermute_b32 v49, v111, v92
	ds_bpermute_b32 v58, v111, v98
	;; [unrolled: 1-line block ×4, first 2 shown]
	s_waitcnt lgkmcnt(15)
	v_add_f32_e32 v33, v33, v38
	v_cndmask_b32_e64 v38, -v90, v90, s10
	v_add_f32_e32 v29, v29, v34
	v_cndmask_b32_e64 v34, -v73, v73, s10
	;; [unrolled: 2-line block ×3, first 2 shown]
	v_cndmask_b32_e64 v16, -v16, v16, s10
	v_add_f32_e32 v31, v31, v36
	v_cndmask_b32_e64 v36, -v84, v84, s10
	v_add_f32_e32 v23, v23, v32
	v_cndmask_b32_e64 v32, -v88, v88, s10
	ds_bpermute_b32 v54, v111, v95
	ds_bpermute_b32 v62, v111, v103
	s_waitcnt lgkmcnt(16)
	v_add_f32_e32 v30, v30, v35
	s_waitcnt lgkmcnt(14)
	v_add_f32_e32 v34, v34, v39
	v_add_f32_e32 v32, v32, v37
	v_cndmask_b32_e64 v35, -v83, v83, s10
	v_cndmask_b32_e64 v37, -v75, v75, s10
	s_waitcnt lgkmcnt(3)
	v_add_f32_e32 v36, v36, v41
	v_cndmask_b32_e64 v39, -v91, v91, s10
	ds_bpermute_b32 v46, v111, v74
	v_add_f32_e32 v38, v38, v43
	v_cndmask_b32_e64 v25, -v25, v25, s10
	v_cndmask_b32_e64 v43, -v76, v76, s10
	ds_bpermute_b32 v50, v111, v93
	ds_bpermute_b32 v51, v111, v94
	v_cndmask_b32_e64 v26, -v26, v26, s10
	v_cndmask_b32_e64 v27, -v27, v27, s10
	ds_bpermute_b32 v59, v111, v99
	v_add_f32_e32 v35, v35, v40
	v_add_f32_e32 v37, v37, v42
	;; [unrolled: 1-line block ×3, first 2 shown]
	v_cndmask_b32_e64 v25, -v94, v94, s10
	v_add_f32_e32 v39, v39, v44
	v_cndmask_b32_e64 v44, -v92, v92, s10
	ds_bpermute_b32 v55, v111, v96
	ds_bpermute_b32 v56, v111, v97
	;; [unrolled: 1-line block ×3, first 2 shown]
	v_add_f32_e32 v47, v26, v52
	v_cndmask_b32_e64 v26, -v28, v28, s10
	v_add_f32_e32 v43, v43, v48
	v_add_f32_e32 v48, v27, v53
	v_cndmask_b32_e64 v27, -v98, v98, s10
	ds_bpermute_b32 v63, v111, v104
	v_add_f32_e32 v44, v44, v49
	v_cndmask_b32_e64 v49, -v95, v95, s10
	ds_bpermute_b32 v28, v111, v100
	ds_bpermute_b32 v60, v111, v101
	v_add_f32_e32 v53, v27, v58
	ds_bpermute_b32 v73, v111, v107
	v_cndmask_b32_e64 v58, -v103, v103, s10
	v_cndmask_b32_e64 v41, -v74, v74, s10
	s_waitcnt lgkmcnt(13)
	v_add_f32_e32 v40, v16, v45
	v_cndmask_b32_e64 v16, -v93, v93, s10
	ds_bpermute_b32 v61, v111, v102
	ds_bpermute_b32 v27, v111, v105
	ds_bpermute_b32 v72, v111, v106
	s_waitcnt lgkmcnt(14)
	v_add_f32_e32 v58, v58, v62
	v_cndmask_b32_e64 v62, -v106, v106, s10
	v_add_f32_e32 v49, v49, v54
	v_cndmask_b32_e64 v54, -v99, v99, s10
	s_waitcnt lgkmcnt(12)
	v_add_f32_e32 v45, v16, v50
	v_cndmask_b32_e64 v16, -v96, v96, s10
	v_add_f32_e32 v41, v41, v46
	s_waitcnt lgkmcnt(11)
	v_add_f32_e32 v46, v25, v51
	v_cndmask_b32_e64 v25, -v97, v97, s10
	s_waitcnt lgkmcnt(10)
	v_add_f32_e32 v54, v54, v59
	s_waitcnt lgkmcnt(9)
	v_add_f32_e32 v50, v16, v55
	v_cndmask_b32_e64 v59, -v104, v104, s10
	v_cndmask_b32_e64 v16, -v100, v100, s10
	ds_bpermute_b32 v74, v111, v108
	v_cndmask_b32_e64 v75, -v108, v108, s10
	s_waitcnt lgkmcnt(9)
	v_add_f32_e32 v51, v25, v56
	v_cndmask_b32_e64 v25, -v101, v101, s10
	s_waitcnt lgkmcnt(7)
	v_add_f32_e32 v59, v59, v63
	v_cndmask_b32_e64 v63, -v107, v107, s10
	v_add_f32_e32 v52, v26, v57
	v_cndmask_b32_e64 v26, -v102, v102, s10
	s_waitcnt lgkmcnt(5)
	v_add_f32_e32 v56, v25, v60
	ds_bpermute_b32 v25, v111, v110
	s_waitcnt lgkmcnt(5)
	v_add_f32_e32 v73, v63, v73
	v_cndmask_b32_e64 v63, -v110, v110, s10
	v_add_f32_e32 v55, v16, v28
	v_cndmask_b32_e64 v28, -v105, v105, s10
	ds_bpermute_b32 v16, v111, v109
	ds_bpermute_b32 v79, v111, v113
	v_cndmask_b32_e64 v77, -v78, v78, s10
	s_waitcnt lgkmcnt(4)
	v_add_f32_e32 v72, v62, v72
	v_add_f32_e32 v60, v28, v27
	ds_bpermute_b32 v27, v111, v114
	v_add_f32_e32 v57, v26, v61
	ds_bpermute_b32 v26, v111, v78
	ds_bpermute_b32 v61, v111, v112
	;; [unrolled: 1-line block ×3, first 2 shown]
	v_cndmask_b32_e64 v78, -v112, v112, s10
	v_cndmask_b32_e64 v62, -v109, v109, s10
	s_waitcnt lgkmcnt(7)
	v_add_f32_e32 v74, v75, v74
	ds_bpermute_b32 v82, v111, v116
	s_waitcnt lgkmcnt(7)
	v_dual_add_f32 v76, v63, v25 :: v_dual_and_b32 v25, 7, v0
	s_waitcnt lgkmcnt(2)
	v_dual_add_f32 v77, v77, v26 :: v_dual_add_f32 v78, v78, v61
	v_cndmask_b32_e64 v61, -v114, v114, s10
	v_lshrrev_b32_e32 v26, 3, v0
	s_delay_alu instid0(VALU_DEP_2)
	v_add_f32_e32 v80, v61, v27
	v_cndmask_b32_e64 v27, -v116, v116, s10
	v_add_f32_e32 v75, v62, v16
	v_cndmask_b32_e64 v16, -v113, v113, s10
	v_lshrrev_b32_e32 v62, 5, v0
	v_lshl_or_b32 v26, v25, 5, v26
	s_waitcnt lgkmcnt(0)
	s_delay_alu instid0(VALU_DEP_3) | instskip(SKIP_2) | instid1(VALU_DEP_2)
	v_dual_add_f32 v82, v27, v82 :: v_dual_add_f32 v79, v16, v79
	v_cndmask_b32_e64 v16, -v115, v115, s10
	v_xor_b32_e32 v0, v62, v0
	v_add_f32_e32 v81, v16, v28
	v_xor_b32_e32 v16, v26, v25
	s_delay_alu instid0(VALU_DEP_3)
	v_lshl_add_u32 v28, v0, 4, 0
	ds_bpermute_b32 v25, v111, v117
	ds_store_b128 v28, v[4:7]
	ds_store_b128 v28, v[8:11] offset:4096
	ds_store_b128 v28, v[12:15] offset:8192
	;; [unrolled: 1-line block ×7, first 2 shown]
	v_lshl_add_u32 v16, v16, 4, 0
	s_waitcnt lgkmcnt(0)
	s_barrier
	buffer_gl0_inv
	v_cndmask_b32_e64 v26, -v117, v117, s10
	ds_load_b128 v[4:7], v16
	ds_load_b128 v[8:11], v16 offset:4096
	ds_load_b128 v[12:15], v16 offset:8192
	;; [unrolled: 1-line block ×7, first 2 shown]
	s_waitcnt lgkmcnt(0)
	s_barrier
	buffer_gl0_inv
	ds_bpermute_b32 v62, v1, v9
	v_add_f32_e32 v83, v26, v25
	ds_bpermute_b32 v61, v1, v8
	ds_bpermute_b32 v63, v1, v10
	;; [unrolled: 1-line block ×5, first 2 shown]
	v_cndmask_b32_e64 v4, -v4, v4, s1
	v_cndmask_b32_e64 v5, -v5, v5, s1
	ds_bpermute_b32 v26, v1, v6
	ds_bpermute_b32 v27, v1, v7
	ds_bpermute_b32 v85, v1, v14
	ds_bpermute_b32 v86, v1, v15
	v_cndmask_b32_e64 v13, -v13, v13, s1
	v_cndmask_b32_e64 v14, -v14, v14, s1
	;; [unrolled: 1-line block ×3, first 2 shown]
	s_waitcnt lgkmcnt(5)
	v_add_f32_e32 v0, v4, v0
	s_waitcnt lgkmcnt(4)
	v_add_f32_e32 v4, v5, v25
	v_cndmask_b32_e64 v5, -v6, v6, s1
	v_cndmask_b32_e64 v6, -v7, v7, s1
	;; [unrolled: 1-line block ×5, first 2 shown]
	ds_bpermute_b32 v10, v1, v11
	ds_bpermute_b32 v25, v1, v12
	v_add_f32_e32 v7, v7, v61
	v_cndmask_b32_e64 v11, -v11, v11, s1
	v_cndmask_b32_e64 v12, -v12, v12, s1
	ds_bpermute_b32 v61, v1, v19
	s_waitcnt lgkmcnt(6)
	v_add_f32_e32 v5, v5, v26
	ds_bpermute_b32 v26, v1, v17
	s_waitcnt lgkmcnt(6)
	v_add_f32_e32 v6, v6, v27
	v_dual_add_f32 v8, v8, v62 :: v_dual_add_f32 v9, v9, v63
	ds_bpermute_b32 v27, v1, v18
	ds_bpermute_b32 v62, v1, v20
	;; [unrolled: 1-line block ×3, first 2 shown]
	s_waitcnt lgkmcnt(5)
	v_dual_add_f32 v10, v11, v10 :: v_dual_add_f32 v11, v12, v25
	v_dual_add_f32 v12, v13, v84 :: v_dual_add_f32 v13, v14, v85
	v_add_f32_e32 v14, v15, v86
	v_cndmask_b32_e64 v15, -v17, v17, s1
	v_cndmask_b32_e64 v17, -v18, v18, s1
	;; [unrolled: 1-line block ×5, first 2 shown]
	ds_bpermute_b32 v21, v1, v22
	ds_bpermute_b32 v25, v1, v23
	;; [unrolled: 1-line block ×4, first 2 shown]
	s_waitcnt lgkmcnt(4)
	v_add_f32_e32 v20, v20, v63
	ds_bpermute_b32 v86, v1, v30
	v_add_f32_e32 v15, v15, v26
	v_cndmask_b32_e64 v22, -v22, v22, s1
	v_cndmask_b32_e64 v23, -v23, v23, s1
	;; [unrolled: 1-line block ×4, first 2 shown]
	v_add_f32_e32 v17, v17, v27
	v_cndmask_b32_e64 v27, -v30, v30, s1
	ds_bpermute_b32 v29, v1, v31
	ds_bpermute_b32 v30, v1, v32
	ds_store_b128 v28, v[41:44]
	ds_store_b128 v28, v[45:48] offset:4096
	ds_store_b128 v28, v[49:52] offset:8192
	;; [unrolled: 1-line block ×7, first 2 shown]
	s_waitcnt lgkmcnt(0)
	s_barrier
	buffer_gl0_inv
	ds_load_b128 v[41:44], v16
	ds_load_b128 v[45:48], v16 offset:4096
	ds_load_b128 v[49:52], v16 offset:8192
	;; [unrolled: 1-line block ×3, first 2 shown]
	v_add_f32_e32 v21, v22, v21
	v_dual_add_f32 v22, v23, v25 :: v_dual_add_f32 v23, v24, v84
	v_add_f32_e32 v24, v26, v85
	v_cndmask_b32_e64 v26, -v31, v31, s1
	v_add_f32_e32 v19, v19, v62
	ds_bpermute_b32 v62, v1, v34
	v_add_f32_e32 v18, v18, v61
	ds_bpermute_b32 v61, v1, v33
	ds_bpermute_b32 v84, v1, v38
	v_add_f32_e32 v25, v27, v86
	v_cndmask_b32_e64 v27, -v32, v32, s1
	v_cndmask_b32_e64 v32, -v34, v34, s1
	ds_bpermute_b32 v34, v1, v36
	ds_bpermute_b32 v86, v1, v40
	ds_bpermute_b32 v63, v1, v35
	v_add_f32_e32 v27, v27, v30
	v_cndmask_b32_e64 v31, -v33, v33, s1
	v_cndmask_b32_e64 v33, -v35, v35, s1
	ds_bpermute_b32 v35, v1, v37
	ds_bpermute_b32 v85, v1, v39
	v_add_f32_e32 v26, v26, v29
	ds_load_b128 v[57:60], v16 offset:16384
	ds_load_b128 v[72:75], v16 offset:20480
	;; [unrolled: 1-line block ×4, first 2 shown]
	s_waitcnt lgkmcnt(0)
	s_barrier
	buffer_gl0_inv
	v_add_f32_e32 v30, v32, v62
	v_cndmask_b32_e64 v32, -v36, v36, s1
	v_cndmask_b32_e64 v36, -v38, v38, s1
	;; [unrolled: 1-line block ×3, first 2 shown]
	ds_bpermute_b32 v40, v1, v42
	ds_bpermute_b32 v62, v1, v44
	v_dual_add_f32 v29, v31, v61 :: v_dual_add_f32 v32, v32, v34
	v_add_f32_e32 v34, v36, v84
	v_add_f32_e32 v36, v38, v86
	v_cndmask_b32_e64 v38, -v42, v42, s1
	v_cndmask_b32_e64 v42, -v44, v44, s1
	ds_bpermute_b32 v44, v1, v46
	ds_bpermute_b32 v84, v1, v48
	;; [unrolled: 1-line block ×4, first 2 shown]
	s_waitcnt lgkmcnt(5)
	v_add_f32_e32 v38, v38, v40
	s_waitcnt lgkmcnt(4)
	v_add_f32_e32 v40, v42, v62
	v_cndmask_b32_e64 v42, -v46, v46, s1
	v_add_f32_e32 v31, v33, v63
	v_cndmask_b32_e64 v33, -v37, v37, s1
	v_cndmask_b32_e64 v37, -v39, v39, s1
	ds_bpermute_b32 v39, v1, v41
	ds_bpermute_b32 v63, v1, v45
	s_waitcnt lgkmcnt(5)
	v_add_f32_e32 v42, v42, v44
	v_cndmask_b32_e64 v46, -v48, v48, s1
	v_cndmask_b32_e64 v48, -v50, v50, s1
	ds_bpermute_b32 v50, v1, v52
	ds_bpermute_b32 v62, v1, v54
	s_waitcnt lgkmcnt(6)
	v_dual_add_f32 v33, v33, v35 :: v_dual_add_f32 v44, v46, v84
	s_waitcnt lgkmcnt(5)
	v_dual_add_f32 v35, v37, v85 :: v_dual_add_f32 v46, v48, v86
	v_cndmask_b32_e64 v37, -v41, v41, s1
	v_cndmask_b32_e64 v41, -v43, v43, s1
	;; [unrolled: 1-line block ×3, first 2 shown]
	ds_bpermute_b32 v45, v1, v47
	ds_bpermute_b32 v85, v1, v49
	v_cndmask_b32_e64 v48, -v52, v52, s1
	v_cndmask_b32_e64 v52, -v54, v54, s1
	ds_bpermute_b32 v54, v1, v56
	ds_bpermute_b32 v84, v1, v58
	s_waitcnt lgkmcnt(7)
	v_add_f32_e32 v37, v37, v39
	v_add_f32_e32 v39, v41, v61
	ds_bpermute_b32 v61, v1, v53
	ds_bpermute_b32 v86, v1, v60
	s_waitcnt lgkmcnt(7)
	v_add_f32_e32 v48, v48, v50
	s_waitcnt lgkmcnt(6)
	v_add_f32_e32 v50, v52, v62
	v_cndmask_b32_e64 v52, -v56, v56, s1
	v_add_f32_e32 v41, v43, v63
	v_cndmask_b32_e64 v43, -v47, v47, s1
	v_cndmask_b32_e64 v47, -v49, v49, s1
	ds_bpermute_b32 v49, v1, v51
	ds_bpermute_b32 v63, v1, v55
	v_cndmask_b32_e64 v56, -v58, v58, s1
	s_waitcnt lgkmcnt(7)
	v_add_f32_e32 v43, v43, v45
	v_cndmask_b32_e64 v58, -v60, v60, s1
	s_waitcnt lgkmcnt(6)
	v_add_f32_e32 v45, v47, v85
	v_cndmask_b32_e64 v47, -v51, v51, s1
	v_cndmask_b32_e64 v51, -v53, v53, s1
	;; [unrolled: 1-line block ×3, first 2 shown]
	ds_bpermute_b32 v55, v1, v57
	ds_bpermute_b32 v85, v1, v59
	;; [unrolled: 1-line block ×4, first 2 shown]
	s_waitcnt lgkmcnt(9)
	v_add_f32_e32 v52, v52, v54
	s_waitcnt lgkmcnt(8)
	v_add_f32_e32 v54, v56, v84
	;; [unrolled: 2-line block ×3, first 2 shown]
	v_cndmask_b32_e64 v58, -v73, v73, s1
	v_cndmask_b32_e64 v73, -v75, v75, s1
	ds_bpermute_b32 v75, v1, v77
	ds_bpermute_b32 v84, v1, v79
	s_waitcnt lgkmcnt(7)
	v_add_f32_e32 v47, v47, v49
	v_add_f32_e32 v49, v51, v61
	s_waitcnt lgkmcnt(6)
	v_add_f32_e32 v51, v53, v63
	v_cndmask_b32_e64 v53, -v57, v57, s1
	v_cndmask_b32_e64 v57, -v59, v59, s1
	ds_bpermute_b32 v59, v1, v72
	ds_bpermute_b32 v61, v1, v74
	;; [unrolled: 1-line block ×4, first 2 shown]
	s_waitcnt lgkmcnt(7)
	v_dual_add_f32 v53, v53, v55 :: v_dual_add_f32 v58, v58, v60
	s_waitcnt lgkmcnt(6)
	v_add_f32_e32 v60, v73, v62
	v_cndmask_b32_e64 v62, -v77, v77, s1
	v_add_f32_e32 v55, v57, v85
	v_cndmask_b32_e64 v57, -v72, v72, s1
	v_cndmask_b32_e64 v72, -v74, v74, s1
	;; [unrolled: 1-line block ×3, first 2 shown]
	s_waitcnt lgkmcnt(5)
	v_add_f32_e32 v62, v62, v75
	ds_bpermute_b32 v76, v1, v78
	ds_bpermute_b32 v85, v1, v80
	v_cndmask_b32_e64 v73, -v80, v80, s1
	ds_bpermute_b32 v77, v1, v82
	ds_bpermute_b32 v1, v1, v83
	;; [unrolled: 1-line block ×3, first 2 shown]
	s_waitcnt lgkmcnt(8)
	v_add_f32_e32 v57, v57, v59
	s_waitcnt lgkmcnt(7)
	v_add_f32_e32 v59, v72, v61
	;; [unrolled: 2-line block ×3, first 2 shown]
	v_cndmask_b32_e64 v74, -v81, v81, s1
	v_cndmask_b32_e64 v75, -v82, v82, s1
	ds_bpermute_b32 v81, v2, v6
	ds_bpermute_b32 v82, v2, v7
	v_cndmask_b32_e64 v63, -v78, v78, s1
	v_cndmask_b32_e64 v72, -v79, v79, s1
	ds_bpermute_b32 v79, v2, v4
	v_cndmask_b32_e64 v4, -v4, v4, s8
	v_cndmask_b32_e64 v5, -v5, v5, s8
	;; [unrolled: 1-line block ×4, first 2 shown]
	s_waitcnt lgkmcnt(7)
	v_add_f32_e32 v63, v63, v76
	v_cndmask_b32_e64 v76, -v83, v83, s1
	ds_bpermute_b32 v78, v2, v0
	v_add_f32_e32 v72, v72, v84
	ds_bpermute_b32 v83, v2, v8
	ds_bpermute_b32 v84, v2, v9
	s_waitcnt lgkmcnt(6)
	v_add_f32_e32 v5, v5, v80
	v_cndmask_b32_e64 v8, -v8, v8, s8
	v_add_f32_e32 v73, v73, v85
	ds_bpermute_b32 v85, v2, v10
	v_cndmask_b32_e64 v10, -v10, v10, s8
	s_waitcnt lgkmcnt(5)
	v_dual_add_f32 v6, v6, v81 :: v_dual_add_f32 v81, v7, v82
	ds_bpermute_b32 v82, v2, v18
	v_add_f32_e32 v1, v76, v1
	ds_bpermute_b32 v76, v2, v11
	ds_bpermute_b32 v80, v2, v15
	v_add_f32_e32 v75, v75, v77
	ds_bpermute_b32 v77, v2, v12
	v_cndmask_b32_e64 v0, -v0, v0, s8
	v_cndmask_b32_e64 v9, -v9, v9, s8
	;; [unrolled: 1-line block ×3, first 2 shown]
	s_waitcnt lgkmcnt(8)
	v_add_f32_e32 v4, v4, v79
	ds_bpermute_b32 v79, v2, v14
	s_waitcnt lgkmcnt(8)
	v_add_f32_e32 v0, v0, v78
	ds_bpermute_b32 v78, v2, v13
	s_waitcnt lgkmcnt(7)
	v_add_f32_e32 v9, v9, v84
	v_cndmask_b32_e64 v11, -v12, v12, s8
	v_cndmask_b32_e64 v12, -v13, v13, s8
	s_waitcnt lgkmcnt(6)
	v_add_f32_e32 v10, v10, v85
	v_cndmask_b32_e64 v13, -v14, v14, s8
	v_cndmask_b32_e64 v14, -v15, v15, s8
	ds_bpermute_b32 v15, v2, v17
	ds_bpermute_b32 v84, v2, v20
	;; [unrolled: 1-line block ×3, first 2 shown]
	s_waitcnt lgkmcnt(7)
	v_add_f32_e32 v76, v7, v76
	v_cndmask_b32_e64 v7, -v17, v17, s8
	v_cndmask_b32_e64 v17, -v20, v20, s8
	ds_bpermute_b32 v20, v2, v23
	v_add_f32_e32 v8, v8, v83
	ds_bpermute_b32 v83, v2, v19
	s_waitcnt lgkmcnt(7)
	v_dual_add_f32 v77, v11, v77 :: v_dual_add_f32 v14, v14, v80
	v_cndmask_b32_e64 v11, -v18, v18, s8
	ds_bpermute_b32 v80, v2, v26
	v_cndmask_b32_e64 v18, -v21, v21, s8
	ds_bpermute_b32 v21, v2, v24
	v_add_f32_e32 v74, v74, v86
	v_add_f32_e32 v82, v11, v82
	v_cndmask_b32_e64 v11, -v23, v23, s8
	s_waitcnt lgkmcnt(7)
	v_dual_add_f32 v78, v12, v78 :: v_dual_add_f32 v13, v13, v79
	v_cndmask_b32_e64 v12, -v19, v19, s8
	ds_bpermute_b32 v19, v2, v22
	ds_bpermute_b32 v23, v2, v29
	;; [unrolled: 1-line block ×3, first 2 shown]
	s_waitcnt lgkmcnt(8)
	v_add_f32_e32 v84, v17, v84
	v_cndmask_b32_e64 v17, -v25, v25, s8
	s_waitcnt lgkmcnt(6)
	v_add_f32_e32 v86, v11, v20
	ds_bpermute_b32 v20, v2, v33
	v_add_f32_e32 v85, v18, v85
	v_cndmask_b32_e64 v18, -v26, v26, s8
	ds_bpermute_b32 v26, v2, v32
	v_add_f32_e32 v15, v7, v15
	ds_bpermute_b32 v25, v2, v31
	v_cndmask_b32_e64 v7, -v22, v22, s8
	s_waitcnt lgkmcnt(7)
	v_add_f32_e32 v80, v18, v80
	v_cndmask_b32_e64 v18, -v32, v32, s8
	v_add_f32_e32 v83, v12, v83
	v_cndmask_b32_e64 v12, -v24, v24, s8
	ds_bpermute_b32 v24, v2, v30
	v_cndmask_b32_e64 v11, -v29, v29, s8
	ds_bpermute_b32 v29, v2, v36
	ds_bpermute_b32 v22, v2, v27
	s_waitcnt lgkmcnt(9)
	v_add_f32_e32 v87, v12, v21
	v_cndmask_b32_e64 v12, -v30, v30, s8
	ds_bpermute_b32 v21, v2, v34
	ds_bpermute_b32 v30, v2, v37
	s_waitcnt lgkmcnt(9)
	v_add_f32_e32 v88, v11, v23
	ds_bpermute_b32 v23, v2, v39
	ds_bpermute_b32 v32, v2, v41
	v_cndmask_b32_e64 v11, -v34, v34, s8
	s_waitcnt lgkmcnt(8)
	v_add_f32_e32 v26, v18, v26
	v_cndmask_b32_e64 v18, -v37, v37, s8
	v_add_f32_e32 v19, v7, v19
	v_cndmask_b32_e64 v7, -v27, v27, s8
	ds_bpermute_b32 v27, v2, v35
	v_add_f32_e32 v79, v17, v79
	v_cndmask_b32_e64 v17, -v31, v31, s8
	s_waitcnt lgkmcnt(8)
	s_delay_alu instid0(VALU_DEP_1)
	v_add_f32_e32 v25, v17, v25
	v_cndmask_b32_e64 v17, -v36, v36, s8
	s_waitcnt lgkmcnt(4)
	v_add_f32_e32 v90, v11, v21
	s_waitcnt lgkmcnt(3)
	v_add_f32_e32 v92, v18, v30
	v_cndmask_b32_e64 v11, -v39, v39, s8
	v_add_f32_e32 v91, v17, v29
	v_cndmask_b32_e64 v17, -v41, v41, s8
	v_cndmask_b32_e64 v18, -v42, v42, s8
	v_add_f32_e32 v89, v12, v24
	v_cndmask_b32_e64 v12, -v35, v35, s8
	ds_bpermute_b32 v30, v2, v46
	ds_bpermute_b32 v24, v2, v40
	;; [unrolled: 1-line block ×3, first 2 shown]
	s_waitcnt lgkmcnt(4)
	v_add_f32_e32 v93, v17, v32
	v_cndmask_b32_e64 v17, -v46, v46, s8
	v_add_f32_e32 v41, v11, v23
	v_cndmask_b32_e64 v11, -v44, v44, s8
	s_waitcnt lgkmcnt(3)
	v_add_f32_e32 v27, v12, v27
	v_cndmask_b32_e64 v12, -v40, v40, s8
	v_add_f32_e32 v31, v7, v22
	v_cndmask_b32_e64 v7, -v33, v33, s8
	ds_bpermute_b32 v33, v2, v42
	ds_bpermute_b32 v29, v2, v45
	;; [unrolled: 1-line block ×5, first 2 shown]
	v_add_f32_e32 v34, v7, v20
	ds_bpermute_b32 v20, v2, v43
	ds_bpermute_b32 v23, v2, v49
	v_cndmask_b32_e64 v7, -v38, v38, s8
	s_waitcnt lgkmcnt(9)
	v_add_f32_e32 v46, v17, v30
	s_waitcnt lgkmcnt(8)
	v_add_f32_e32 v42, v12, v24
	ds_bpermute_b32 v30, v2, v56
	v_cndmask_b32_e64 v12, -v45, v45, s8
	v_cndmask_b32_e64 v17, -v51, v51, s8
	ds_bpermute_b32 v24, v2, v50
	s_waitcnt lgkmcnt(9)
	v_add_f32_e32 v44, v11, v21
	ds_bpermute_b32 v21, v2, v54
	v_cndmask_b32_e64 v11, -v49, v49, s8
	ds_bpermute_b32 v37, v3, v79
	ds_bpermute_b32 v36, v3, v19
	s_waitcnt lgkmcnt(11)
	v_add_f32_e32 v94, v18, v33
	ds_bpermute_b32 v33, v2, v52
	v_cndmask_b32_e64 v18, -v47, v47, s8
	s_waitcnt lgkmcnt(10)
	v_dual_add_f32 v45, v12, v29 :: v_dual_add_f32 v98, v17, v32
	v_cndmask_b32_e64 v17, -v56, v56, s8
	ds_bpermute_b32 v32, v2, v61
	s_waitcnt lgkmcnt(9)
	v_add_f32_e32 v38, v7, v22
	v_cndmask_b32_e64 v7, -v43, v43, s8
	v_cndmask_b32_e64 v12, -v50, v50, s8
	ds_bpermute_b32 v29, v2, v55
	s_waitcnt lgkmcnt(7)
	v_add_f32_e32 v103, v17, v30
	v_cndmask_b32_e64 v17, -v61, v61, s8
	v_add_f32_e32 v47, v18, v35
	v_cndmask_b32_e64 v18, -v52, v52, s8
	ds_bpermute_b32 v35, v2, v57
	v_add_f32_e32 v96, v11, v23
	v_cndmask_b32_e64 v11, -v54, v54, s8
	ds_bpermute_b32 v22, v2, v48
	ds_bpermute_b32 v23, v2, v59
	ds_bpermute_b32 v30, v2, v74
	s_waitcnt lgkmcnt(6)
	v_add_f32_e32 v99, v18, v33
	ds_bpermute_b32 v33, v2, v62
	v_cndmask_b32_e64 v18, -v57, v57, s8
	v_add_f32_e32 v43, v7, v20
	ds_bpermute_b32 v20, v2, v53
	v_cndmask_b32_e64 v7, -v48, v48, s8
	s_waitcnt lgkmcnt(7)
	v_add_f32_e32 v108, v17, v32
	v_cndmask_b32_e64 v17, -v74, v74, s8
	ds_bpermute_b32 v32, v3, v6
	ds_bpermute_b32 v51, v3, v26
	v_cndmask_b32_e64 v26, -v26, v26, s9
	ds_bpermute_b32 v39, v3, v80
	ds_bpermute_b32 v40, v3, v31
	;; [unrolled: 1-line block ×3, first 2 shown]
	s_waitcnt lgkmcnt(10)
	v_add_f32_e32 v104, v18, v35
	v_cndmask_b32_e64 v18, -v62, v62, s8
	ds_bpermute_b32 v35, v2, v75
	ds_bpermute_b32 v49, v3, v89
	;; [unrolled: 1-line block ×5, first 2 shown]
	s_waitcnt lgkmcnt(11)
	v_add_f32_e32 v109, v18, v33
	v_cndmask_b32_e64 v18, -v75, v75, s8
	v_add_f32_e32 v101, v11, v21
	v_cndmask_b32_e64 v11, -v59, v59, s8
	v_add_f32_e32 v97, v12, v24
	ds_bpermute_b32 v24, v2, v60
	v_cndmask_b32_e64 v12, -v55, v55, s8
	ds_bpermute_b32 v21, v2, v72
	v_add_f32_e32 v106, v11, v23
	v_cndmask_b32_e64 v11, -v72, v72, s8
	ds_bpermute_b32 v23, v3, v4
	v_add_f32_e32 v102, v12, v29
	v_cndmask_b32_e64 v12, -v60, v60, s8
	ds_bpermute_b32 v29, v2, v73
	ds_bpermute_b32 v33, v3, v15
	s_waitcnt lgkmcnt(9)
	v_add_f32_e32 v114, v18, v35
	ds_bpermute_b32 v18, v3, v8
	ds_bpermute_b32 v35, v3, v85
	;; [unrolled: 1-line block ×3, first 2 shown]
	v_cndmask_b32_e64 v25, -v25, v25, s9
	ds_bpermute_b32 v56, v3, v94
	ds_bpermute_b32 v57, v3, v43
	s_waitcnt lgkmcnt(9)
	v_add_f32_e32 v107, v12, v24
	v_cndmask_b32_e64 v12, -v73, v73, s8
	v_add_f32_e32 v95, v7, v22
	v_cndmask_b32_e64 v7, -v53, v53, s8
	ds_bpermute_b32 v22, v2, v58
	ds_bpermute_b32 v24, v3, v5
	s_waitcnt lgkmcnt(10)
	v_add_f32_e32 v111, v11, v21
	v_cndmask_b32_e64 v11, -v5, v5, s9
	v_add_f32_e32 v100, v7, v20
	ds_bpermute_b32 v20, v2, v63
	v_cndmask_b32_e64 v7, -v58, v58, s8
	s_waitcnt lgkmcnt(9)
	v_add_f32_e32 v112, v12, v29
	v_cndmask_b32_e64 v12, -v6, v6, s9
	ds_bpermute_b32 v2, v2, v1
	ds_bpermute_b32 v21, v3, v10
	;; [unrolled: 1-line block ×3, first 2 shown]
	v_cndmask_b32_e64 v1, -v1, v1, s8
	ds_bpermute_b32 v53, v3, v91
	ds_bpermute_b32 v58, v3, v47
	;; [unrolled: 1-line block ×4, first 2 shown]
	s_waitcnt lgkmcnt(8)
	v_add_f32_e32 v6, v11, v24
	v_cndmask_b32_e64 v11, -v9, v9, s9
	v_add_f32_e32 v113, v17, v30
	ds_bpermute_b32 v17, v3, v81
	v_add_f32_e32 v105, v7, v22
	v_cndmask_b32_e64 v7, -v63, v63, s8
	ds_bpermute_b32 v22, v3, v0
	v_cndmask_b32_e64 v0, -v0, v0, s9
	ds_bpermute_b32 v30, v3, v13
	ds_bpermute_b32 v24, v3, v78
	s_waitcnt lgkmcnt(11)
	v_add_f32_e32 v110, v7, v20
	ds_bpermute_b32 v20, v3, v9
	v_cndmask_b32_e64 v7, -v4, v4, s9
	s_delay_alu instid0(VALU_DEP_1)
	v_add_f32_e32 v5, v7, v23
	v_add_f32_e32 v7, v12, v32
	ds_bpermute_b32 v32, v3, v14
	v_cndmask_b32_e64 v12, -v10, v10, s9
	ds_bpermute_b32 v23, v3, v77
	s_waitcnt lgkmcnt(5)
	v_add_f32_e32 v4, v0, v22
	v_cndmask_b32_e64 v22, -v76, v76, s9
	v_cndmask_b32_e64 v0, -v81, v81, s9
	ds_bpermute_b32 v76, v3, v104
	s_waitcnt lgkmcnt(3)
	v_dual_add_f32 v10, v11, v20 :: v_dual_add_f32 v11, v12, v21
	v_add_f32_e32 v12, v22, v29
	v_cndmask_b32_e64 v20, -v15, v15, s9
	v_add_f32_e32 v1, v1, v2
	v_cndmask_b32_e64 v2, -v8, v8, s9
	ds_bpermute_b32 v21, v3, v82
	ds_bpermute_b32 v29, v3, v84
	v_add_f32_e32 v8, v0, v17
	v_cndmask_b32_e64 v17, -v13, v13, s9
	v_add_f32_e32 v9, v2, v18
	v_cndmask_b32_e64 v18, -v14, v14, s9
	ds_bpermute_b32 v22, v3, v83
	v_cndmask_b32_e64 v0, -v77, v77, s9
	v_add_f32_e32 v15, v17, v30
	v_cndmask_b32_e64 v2, -v78, v78, s9
	s_waitcnt lgkmcnt(5)
	v_add_f32_e32 v17, v18, v32
	ds_bpermute_b32 v32, v3, v86
	s_waitcnt lgkmcnt(5)
	v_add_f32_e32 v13, v0, v23
	v_add_f32_e32 v18, v20, v33
	v_cndmask_b32_e64 v0, -v82, v82, s9
	v_cndmask_b32_e64 v23, -v84, v84, s9
	;; [unrolled: 1-line block ×3, first 2 shown]
	ds_bpermute_b32 v33, v3, v87
	v_add_f32_e32 v14, v2, v24
	v_cndmask_b32_e64 v2, -v83, v83, s9
	v_cndmask_b32_e64 v24, -v85, v85, s9
	s_waitcnt lgkmcnt(4)
	v_add_f32_e32 v19, v0, v21
	s_waitcnt lgkmcnt(3)
	v_add_f32_e32 v21, v23, v29
	v_add_f32_e32 v23, v30, v36
	v_cndmask_b32_e64 v30, -v79, v79, s9
	v_cndmask_b32_e64 v0, -v86, v86, s9
	s_waitcnt lgkmcnt(2)
	v_add_f32_e32 v20, v2, v22
	v_add_f32_e32 v22, v24, v35
	v_cndmask_b32_e64 v35, -v80, v80, s9
	v_cndmask_b32_e64 v36, -v31, v31, s9
	v_add_f32_e32 v30, v30, v37
	v_cndmask_b32_e64 v37, -v34, v34, s9
	v_cndmask_b32_e64 v2, -v87, v87, s9
	s_waitcnt lgkmcnt(1)
	v_add_f32_e32 v24, v0, v32
	v_add_f32_e32 v32, v36, v40
	ds_bpermute_b32 v40, v3, v27
	v_add_f32_e32 v37, v37, v52
	ds_bpermute_b32 v52, v3, v93
	;; [unrolled: 2-line block ×4, first 2 shown]
	s_waitcnt lgkmcnt(4)
	v_add_f32_e32 v29, v2, v33
	v_cndmask_b32_e64 v2, -v89, v89, s9
	v_cndmask_b32_e64 v0, -v88, v88, s9
	v_add_f32_e32 v36, v26, v51
	v_cndmask_b32_e64 v26, -v92, v92, s9
	v_cndmask_b32_e64 v25, -v91, v91, s9
	v_add_f32_e32 v34, v2, v49
	v_cndmask_b32_e64 v2, -v27, v27, s9
	v_cndmask_b32_e64 v27, -v38, v38, s9
	ds_bpermute_b32 v82, v3, v110
	v_cndmask_b32_e64 v83, -v110, v110, s9
	ds_bpermute_b32 v51, v3, v42
	ds_bpermute_b32 v77, v3, v105
	v_add_f32_e32 v49, v27, v55
	v_cndmask_b32_e64 v27, -v43, v43, s9
	v_add_f32_e32 v33, v0, v48
	v_cndmask_b32_e64 v0, -v90, v90, s9
	;; [unrolled: 2-line block ×3, first 2 shown]
	v_add_f32_e32 v54, v27, v57
	ds_bpermute_b32 v43, v3, v46
	s_waitcnt lgkmcnt(5)
	v_dual_add_f32 v38, v0, v39 :: v_dual_add_f32 v39, v2, v40
	v_add_f32_e32 v40, v25, v53
	v_cndmask_b32_e64 v25, -v93, v93, s9
	v_add_f32_e32 v53, v26, v56
	v_cndmask_b32_e64 v26, -v47, v47, s9
	ds_bpermute_b32 v47, v3, v99
	v_cndmask_b32_e64 v2, -v42, v42, s9
	s_waitcnt lgkmcnt(4)
	v_add_f32_e32 v82, v83, v82
	v_add_f32_e32 v52, v25, v52
	v_cndmask_b32_e64 v25, -v46, v46, s9
	ds_bpermute_b32 v46, v3, v98
	v_add_f32_e32 v58, v26, v58
	v_cndmask_b32_e64 v26, -v99, v99, s9
	ds_bpermute_b32 v42, v3, v45
	v_cndmask_b32_e64 v27, -v95, v95, s9
	v_cndmask_b32_e64 v0, -v41, v41, s9
	ds_bpermute_b32 v41, v3, v44
	v_add_f32_e32 v50, v0, v50
	v_cndmask_b32_e64 v0, -v44, v44, s9
	ds_bpermute_b32 v44, v3, v96
	s_waitcnt lgkmcnt(4)
	v_add_f32_e32 v63, v26, v47
	v_cndmask_b32_e64 v26, -v104, v104, s9
	v_add_f32_e32 v57, v25, v43
	v_cndmask_b32_e64 v25, -v98, v98, s9
	ds_bpermute_b32 v43, v3, v103
	ds_bpermute_b32 v47, v3, v109
	v_add_f32_e32 v76, v26, v76
	ds_bpermute_b32 v26, v3, v114
	s_waitcnt lgkmcnt(6)
	v_add_f32_e32 v62, v25, v46
	ds_bpermute_b32 v46, v3, v108
	v_add_f32_e32 v59, v27, v59
	v_cndmask_b32_e64 v27, -v100, v100, s9
	v_add_f32_e32 v51, v2, v51
	v_cndmask_b32_e64 v2, -v45, v45, s9
	ds_bpermute_b32 v45, v3, v97
	v_cndmask_b32_e64 v25, -v103, v103, s9
	v_add_f32_e32 v72, v27, v72
	v_cndmask_b32_e64 v27, -v105, v105, s9
	s_waitcnt lgkmcnt(7)
	v_add_f32_e32 v56, v2, v42
	v_cndmask_b32_e64 v2, -v97, v97, s9
	ds_bpermute_b32 v42, v3, v102
	v_add_f32_e32 v77, v27, v77
	v_cndmask_b32_e64 v27, -v106, v106, s9
	s_waitcnt lgkmcnt(5)
	v_add_f32_e32 v75, v25, v43
	v_cndmask_b32_e64 v43, -v109, v109, s9
	ds_bpermute_b32 v25, v3, v113
	s_waitcnt lgkmcnt(5)
	v_add_f32_e32 v81, v43, v47
	v_cndmask_b32_e64 v43, -v114, v114, s9
	s_waitcnt lgkmcnt(2)
	v_add_f32_e32 v61, v2, v45
	v_cndmask_b32_e64 v2, -v102, v102, s9
	v_add_f32_e32 v55, v0, v41
	ds_bpermute_b32 v41, v3, v101
	v_cndmask_b32_e64 v0, -v96, v96, s9
	ds_bpermute_b32 v45, v3, v107
	s_waitcnt lgkmcnt(3)
	v_add_f32_e32 v74, v2, v42
	ds_bpermute_b32 v2, v3, v112
	v_cndmask_b32_e64 v42, -v108, v108, s9
	v_add_f32_e32 v60, v0, v44
	v_cndmask_b32_e64 v0, -v101, v101, s9
	ds_bpermute_b32 v44, v3, v106
	v_add_f32_e32 v86, v43, v26
	v_add_f32_e32 v80, v42, v46
	v_cndmask_b32_e64 v42, -v113, v113, s9
	ds_store_b128 v16, v[4:7]
	ds_store_b128 v16, v[8:11] offset:4096
	ds_store_b128 v16, v[12:15] offset:8192
	;; [unrolled: 1-line block ×7, first 2 shown]
	s_waitcnt lgkmcnt(0)
	s_barrier
	buffer_gl0_inv
	v_add_f32_e32 v85, v42, v25
	v_add_f32_e32 v73, v0, v41
	ds_bpermute_b32 v0, v3, v111
	ds_bpermute_b32 v3, v3, v1
	v_cndmask_b32_e64 v41, -v107, v107, s9
	v_cndmask_b32_e64 v1, -v1, v1, s9
	s_delay_alu instid0(VALU_DEP_2) | instskip(SKIP_3) | instid1(VALU_DEP_1)
	v_dual_add_f32 v78, v27, v44 :: v_dual_add_f32 v79, v41, v45
	v_cndmask_b32_e64 v27, -v111, v111, s9
	v_cndmask_b32_e64 v41, -v112, v112, s9
	s_waitcnt lgkmcnt(1)
	v_dual_add_f32 v84, v41, v2 :: v_dual_add_f32 v83, v27, v0
	s_waitcnt lgkmcnt(0)
	v_add_f32_e32 v87, v1, v3
	ds_load_b128 v[32:35], v28
	ds_load_b128 v[0:3], v28 offset:4096
	ds_load_b128 v[36:39], v28 offset:8192
	;; [unrolled: 1-line block ×7, first 2 shown]
	s_waitcnt lgkmcnt(0)
	s_barrier
	buffer_gl0_inv
	v_add_f32_e32 v96, v32, v36
	ds_store_b128 v16, v[48:51]
	ds_store_b128 v16, v[52:55] offset:4096
	ds_store_b128 v16, v[56:59] offset:8192
	;; [unrolled: 1-line block ×7, first 2 shown]
	s_waitcnt lgkmcnt(0)
	s_barrier
	buffer_gl0_inv
	ds_load_b128 v[48:51], v28 offset:8192
	ds_load_b128 v[52:55], v28 offset:16384
	ds_load_b128 v[56:59], v28
	ds_load_b128 v[60:63], v28 offset:24576
	ds_load_b128 v[16:19], v28 offset:4096
	;; [unrolled: 1-line block ×5, first 2 shown]
	v_add_f32_e32 v97, v40, v44
	s_delay_alu instid0(VALU_DEP_1) | instskip(SKIP_4) | instid1(VALU_DEP_1)
	v_add_f32_e32 v80, v96, v97
	s_waitcnt lgkmcnt(5)
	v_add_f32_e32 v98, v56, v48
	s_waitcnt lgkmcnt(4)
	v_add_f32_e32 v99, v52, v60
	v_add_f32_e32 v81, v98, v99
	s_delay_alu instid0(VALU_DEP_1) | instskip(NEXT) | instid1(VALU_DEP_1)
	v_add_f32_e32 v72, v81, v80
	v_mul_f32_e32 v73, s13, v72
	s_delay_alu instid0(VALU_DEP_1) | instskip(NEXT) | instid1(VALU_DEP_1)
	v_and_b32_e32 v72, 0x7f800000, v73
	v_cmp_ne_u32_e64 s1, 0x7f800000, v72
                                        ; implicit-def: $vgpr72
	s_delay_alu instid0(VALU_DEP_1) | instskip(NEXT) | instid1(SALU_CYCLE_1)
	s_and_saveexec_b32 s8, s1
	s_xor_b32 s1, exec_lo, s8
; %bb.17:
	v_bfe_u32 v72, v73, 16, 1
	s_delay_alu instid0(VALU_DEP_1)
	v_add3_u32 v72, v73, v72, 0x7fff
                                        ; implicit-def: $vgpr73
; %bb.18:
	s_and_not1_saveexec_b32 s8, s1
; %bb.19:
	v_and_b32_e32 v72, 0xffff, v73
	v_or_b32_e32 v74, 0x10000, v73
	s_delay_alu instid0(VALU_DEP_2) | instskip(NEXT) | instid1(VALU_DEP_1)
	v_cmp_eq_u32_e64 s1, 0, v72
	v_cndmask_b32_e64 v72, v74, v73, s1
; %bb.20:
	s_or_b32 exec_lo, exec_lo, s8
	v_add_f32_e32 v101, v41, v45
	v_add_f32_e32 v102, v57, v49
	;; [unrolled: 1-line block ×3, first 2 shown]
	s_delay_alu instid0(VALU_DEP_1) | instskip(NEXT) | instid1(VALU_DEP_1)
	v_dual_add_f32 v100, v33, v37 :: v_dual_add_f32 v83, v102, v103
	v_add_f32_e32 v82, v100, v101
	s_delay_alu instid0(VALU_DEP_1) | instskip(NEXT) | instid1(VALU_DEP_1)
	v_add_f32_e32 v73, v83, v82
	v_mul_f32_e32 v74, s13, v73
	s_delay_alu instid0(VALU_DEP_1) | instskip(NEXT) | instid1(VALU_DEP_1)
	v_and_b32_e32 v73, 0x7f800000, v74
	v_cmp_ne_u32_e64 s1, 0x7f800000, v73
                                        ; implicit-def: $vgpr73
	s_delay_alu instid0(VALU_DEP_1) | instskip(NEXT) | instid1(SALU_CYCLE_1)
	s_and_saveexec_b32 s8, s1
	s_xor_b32 s1, exec_lo, s8
; %bb.21:
	v_bfe_u32 v73, v74, 16, 1
	s_delay_alu instid0(VALU_DEP_1)
	v_add3_u32 v73, v74, v73, 0x7fff
                                        ; implicit-def: $vgpr74
; %bb.22:
	s_and_not1_saveexec_b32 s8, s1
; %bb.23:
	v_and_b32_e32 v73, 0xffff, v74
	v_or_b32_e32 v75, 0x10000, v74
	s_delay_alu instid0(VALU_DEP_2) | instskip(NEXT) | instid1(VALU_DEP_1)
	v_cmp_eq_u32_e64 s1, 0, v73
	v_cndmask_b32_e64 v73, v75, v74, s1
; %bb.24:
	s_or_b32 exec_lo, exec_lo, s8
	v_add_f32_e32 v104, v34, v38
	v_add_f32_e32 v106, v58, v50
	;; [unrolled: 1-line block ×3, first 2 shown]
	s_delay_alu instid0(VALU_DEP_1) | instskip(SKIP_1) | instid1(VALU_DEP_1)
	v_add_f32_e32 v85, v106, v107
	v_add_f32_e32 v105, v42, v46
	;; [unrolled: 1-line block ×3, first 2 shown]
	s_delay_alu instid0(VALU_DEP_1) | instskip(NEXT) | instid1(VALU_DEP_1)
	v_add_f32_e32 v74, v85, v84
	v_mul_f32_e32 v75, s13, v74
	s_delay_alu instid0(VALU_DEP_1) | instskip(NEXT) | instid1(VALU_DEP_1)
	v_and_b32_e32 v74, 0x7f800000, v75
	v_cmp_ne_u32_e64 s1, 0x7f800000, v74
                                        ; implicit-def: $vgpr74
	s_delay_alu instid0(VALU_DEP_1) | instskip(NEXT) | instid1(SALU_CYCLE_1)
	s_and_saveexec_b32 s8, s1
	s_xor_b32 s1, exec_lo, s8
; %bb.25:
	v_bfe_u32 v74, v75, 16, 1
	s_delay_alu instid0(VALU_DEP_1)
	v_add3_u32 v74, v75, v74, 0x7fff
                                        ; implicit-def: $vgpr75
; %bb.26:
	s_and_not1_saveexec_b32 s8, s1
; %bb.27:
	v_and_b32_e32 v74, 0xffff, v75
	v_or_b32_e32 v76, 0x10000, v75
	s_delay_alu instid0(VALU_DEP_2) | instskip(NEXT) | instid1(VALU_DEP_1)
	v_cmp_eq_u32_e64 s1, 0, v74
	v_cndmask_b32_e64 v74, v76, v75, s1
; %bb.28:
	s_or_b32 exec_lo, exec_lo, s8
	v_add_f32_e32 v108, v35, v39
	v_add_f32_e32 v109, v43, v47
	;; [unrolled: 1-line block ×3, first 2 shown]
	s_delay_alu instid0(VALU_DEP_2) | instskip(NEXT) | instid1(VALU_DEP_1)
	v_dual_add_f32 v111, v55, v63 :: v_dual_add_f32 v86, v108, v109
	v_add_f32_e32 v87, v110, v111
	s_delay_alu instid0(VALU_DEP_1) | instskip(NEXT) | instid1(VALU_DEP_1)
	v_add_f32_e32 v75, v87, v86
	v_mul_f32_e32 v76, s13, v75
	s_delay_alu instid0(VALU_DEP_1) | instskip(NEXT) | instid1(VALU_DEP_1)
	v_and_b32_e32 v75, 0x7f800000, v76
	v_cmp_ne_u32_e64 s1, 0x7f800000, v75
                                        ; implicit-def: $vgpr75
	s_delay_alu instid0(VALU_DEP_1) | instskip(NEXT) | instid1(SALU_CYCLE_1)
	s_and_saveexec_b32 s8, s1
	s_xor_b32 s1, exec_lo, s8
; %bb.29:
	v_bfe_u32 v75, v76, 16, 1
	s_delay_alu instid0(VALU_DEP_1)
	v_add3_u32 v75, v76, v75, 0x7fff
                                        ; implicit-def: $vgpr76
; %bb.30:
	s_and_not1_saveexec_b32 s8, s1
; %bb.31:
	v_and_b32_e32 v75, 0xffff, v76
	v_or_b32_e32 v77, 0x10000, v76
	s_delay_alu instid0(VALU_DEP_2) | instskip(NEXT) | instid1(VALU_DEP_1)
	v_cmp_eq_u32_e64 s1, 0, v75
	v_cndmask_b32_e64 v75, v77, v76, s1
; %bb.32:
	s_or_b32 exec_lo, exec_lo, s8
	v_add_f32_e32 v113, v8, v12
	s_waitcnt lgkmcnt(2)
	v_add_f32_e32 v114, v16, v20
	s_waitcnt lgkmcnt(0)
	v_add_f32_e32 v115, v24, v28
	s_delay_alu instid0(VALU_DEP_1) | instskip(NEXT) | instid1(VALU_DEP_1)
	v_dual_add_f32 v112, v0, v4 :: v_dual_add_f32 v89, v114, v115
	v_add_f32_e32 v88, v112, v113
	s_delay_alu instid0(VALU_DEP_1) | instskip(NEXT) | instid1(VALU_DEP_1)
	v_add_f32_e32 v76, v89, v88
	v_mul_f32_e32 v77, s13, v76
	s_delay_alu instid0(VALU_DEP_1) | instskip(NEXT) | instid1(VALU_DEP_1)
	v_and_b32_e32 v76, 0x7f800000, v77
	v_cmp_ne_u32_e64 s1, 0x7f800000, v76
                                        ; implicit-def: $vgpr76
	s_delay_alu instid0(VALU_DEP_1) | instskip(NEXT) | instid1(SALU_CYCLE_1)
	s_and_saveexec_b32 s8, s1
	s_xor_b32 s1, exec_lo, s8
; %bb.33:
	v_bfe_u32 v76, v77, 16, 1
	s_delay_alu instid0(VALU_DEP_1)
	v_add3_u32 v76, v77, v76, 0x7fff
                                        ; implicit-def: $vgpr77
; %bb.34:
	s_and_not1_saveexec_b32 s8, s1
; %bb.35:
	v_and_b32_e32 v76, 0xffff, v77
	v_or_b32_e32 v78, 0x10000, v77
	s_delay_alu instid0(VALU_DEP_2) | instskip(NEXT) | instid1(VALU_DEP_1)
	v_cmp_eq_u32_e64 s1, 0, v76
	v_cndmask_b32_e64 v76, v78, v77, s1
; %bb.36:
	s_or_b32 exec_lo, exec_lo, s8
	v_add_f32_e32 v117, v9, v13
	v_add_f32_e32 v118, v17, v21
	;; [unrolled: 1-line block ×3, first 2 shown]
	s_delay_alu instid0(VALU_DEP_1) | instskip(NEXT) | instid1(VALU_DEP_1)
	v_dual_add_f32 v116, v1, v5 :: v_dual_add_f32 v91, v118, v119
	v_add_f32_e32 v90, v116, v117
	s_delay_alu instid0(VALU_DEP_1) | instskip(NEXT) | instid1(VALU_DEP_1)
	v_add_f32_e32 v77, v91, v90
	v_mul_f32_e32 v78, s13, v77
	s_delay_alu instid0(VALU_DEP_1) | instskip(NEXT) | instid1(VALU_DEP_1)
	v_and_b32_e32 v77, 0x7f800000, v78
	v_cmp_ne_u32_e64 s1, 0x7f800000, v77
                                        ; implicit-def: $vgpr77
	s_delay_alu instid0(VALU_DEP_1) | instskip(NEXT) | instid1(SALU_CYCLE_1)
	s_and_saveexec_b32 s8, s1
	s_xor_b32 s1, exec_lo, s8
; %bb.37:
	v_bfe_u32 v77, v78, 16, 1
	s_delay_alu instid0(VALU_DEP_1)
	v_add3_u32 v77, v78, v77, 0x7fff
                                        ; implicit-def: $vgpr78
; %bb.38:
	s_and_not1_saveexec_b32 s8, s1
; %bb.39:
	v_and_b32_e32 v77, 0xffff, v78
	v_or_b32_e32 v79, 0x10000, v78
	s_delay_alu instid0(VALU_DEP_2) | instskip(NEXT) | instid1(VALU_DEP_1)
	v_cmp_eq_u32_e64 s1, 0, v77
	v_cndmask_b32_e64 v77, v79, v78, s1
; %bb.40:
	s_or_b32 exec_lo, exec_lo, s8
	v_add_f32_e32 v120, v2, v6
	v_add_f32_e32 v122, v18, v22
	;; [unrolled: 1-line block ×3, first 2 shown]
	s_delay_alu instid0(VALU_DEP_1) | instskip(SKIP_1) | instid1(VALU_DEP_1)
	v_add_f32_e32 v93, v122, v123
	v_add_f32_e32 v121, v10, v14
	;; [unrolled: 1-line block ×3, first 2 shown]
	s_delay_alu instid0(VALU_DEP_1) | instskip(NEXT) | instid1(VALU_DEP_1)
	v_add_f32_e32 v78, v93, v92
	v_mul_f32_e32 v79, s13, v78
	s_delay_alu instid0(VALU_DEP_1) | instskip(NEXT) | instid1(VALU_DEP_1)
	v_and_b32_e32 v78, 0x7f800000, v79
	v_cmp_ne_u32_e64 s1, 0x7f800000, v78
                                        ; implicit-def: $vgpr78
	s_delay_alu instid0(VALU_DEP_1) | instskip(NEXT) | instid1(SALU_CYCLE_1)
	s_and_saveexec_b32 s8, s1
	s_xor_b32 s1, exec_lo, s8
; %bb.41:
	v_bfe_u32 v78, v79, 16, 1
	s_delay_alu instid0(VALU_DEP_1)
	v_add3_u32 v78, v79, v78, 0x7fff
                                        ; implicit-def: $vgpr79
; %bb.42:
	s_and_not1_saveexec_b32 s8, s1
; %bb.43:
	v_and_b32_e32 v78, 0xffff, v79
	v_or_b32_e32 v94, 0x10000, v79
	s_delay_alu instid0(VALU_DEP_2) | instskip(NEXT) | instid1(VALU_DEP_1)
	v_cmp_eq_u32_e64 s1, 0, v78
	v_cndmask_b32_e64 v78, v94, v79, s1
; %bb.44:
	s_or_b32 exec_lo, exec_lo, s8
	v_add_f32_e32 v124, v3, v7
	v_add_f32_e32 v125, v11, v15
	;; [unrolled: 1-line block ×3, first 2 shown]
	s_delay_alu instid0(VALU_DEP_2) | instskip(NEXT) | instid1(VALU_DEP_1)
	v_dual_add_f32 v127, v27, v31 :: v_dual_add_f32 v94, v124, v125
	v_add_f32_e32 v95, v126, v127
	s_delay_alu instid0(VALU_DEP_1) | instskip(NEXT) | instid1(VALU_DEP_1)
	v_add_f32_e32 v79, v95, v94
	v_mul_f32_e32 v128, s13, v79
	s_delay_alu instid0(VALU_DEP_1) | instskip(NEXT) | instid1(VALU_DEP_1)
	v_and_b32_e32 v79, 0x7f800000, v128
	v_cmp_ne_u32_e64 s1, 0x7f800000, v79
                                        ; implicit-def: $vgpr79
	s_delay_alu instid0(VALU_DEP_1) | instskip(NEXT) | instid1(SALU_CYCLE_1)
	s_and_saveexec_b32 s8, s1
	s_xor_b32 s1, exec_lo, s8
; %bb.45:
	v_bfe_u32 v79, v128, 16, 1
	s_delay_alu instid0(VALU_DEP_1)
	v_add3_u32 v79, v128, v79, 0x7fff
                                        ; implicit-def: $vgpr128
; %bb.46:
	s_and_not1_saveexec_b32 s8, s1
; %bb.47:
	v_and_b32_e32 v79, 0xffff, v128
	v_or_b32_e32 v129, 0x10000, v128
	s_delay_alu instid0(VALU_DEP_2) | instskip(NEXT) | instid1(VALU_DEP_1)
	v_cmp_eq_u32_e64 s1, 0, v79
	v_cndmask_b32_e64 v79, v129, v128, s1
; %bb.48:
	s_or_b32 exec_lo, exec_lo, s8
	v_sub_f32_e32 v128, v32, v36
	v_sub_f32_e32 v129, v40, v44
	;; [unrolled: 1-line block ×4, first 2 shown]
	s_delay_alu instid0(VALU_DEP_3) | instskip(NEXT) | instid1(VALU_DEP_2)
	v_add_f32_e32 v36, v128, v129
	v_add_f32_e32 v40, v130, v60
	s_delay_alu instid0(VALU_DEP_1) | instskip(NEXT) | instid1(VALU_DEP_1)
	v_add_f32_e32 v32, v40, v36
	v_mul_f32_e32 v44, s13, v32
	s_delay_alu instid0(VALU_DEP_1) | instskip(NEXT) | instid1(VALU_DEP_1)
	v_and_b32_e32 v32, 0x7f800000, v44
	v_cmp_ne_u32_e64 s1, 0x7f800000, v32
                                        ; implicit-def: $vgpr32
	s_delay_alu instid0(VALU_DEP_1) | instskip(NEXT) | instid1(SALU_CYCLE_1)
	s_and_saveexec_b32 s8, s1
	s_xor_b32 s1, exec_lo, s8
; %bb.49:
	v_bfe_u32 v32, v44, 16, 1
	s_delay_alu instid0(VALU_DEP_1)
	v_add3_u32 v32, v44, v32, 0x7fff
                                        ; implicit-def: $vgpr44
; %bb.50:
	s_and_not1_saveexec_b32 s8, s1
; %bb.51:
	v_and_b32_e32 v32, 0xffff, v44
	v_or_b32_e32 v48, 0x10000, v44
	s_delay_alu instid0(VALU_DEP_2) | instskip(NEXT) | instid1(VALU_DEP_1)
	v_cmp_eq_u32_e64 s1, 0, v32
	v_cndmask_b32_e64 v32, v48, v44, s1
; %bb.52:
	s_or_b32 exec_lo, exec_lo, s8
	v_sub_f32_e32 v131, v33, v37
	v_sub_f32_e32 v132, v41, v45
	;; [unrolled: 1-line block ×4, first 2 shown]
	s_delay_alu instid0(VALU_DEP_3) | instskip(NEXT) | instid1(VALU_DEP_2)
	v_add_f32_e32 v37, v131, v132
	v_add_f32_e32 v41, v133, v61
	s_delay_alu instid0(VALU_DEP_1) | instskip(NEXT) | instid1(VALU_DEP_1)
	v_add_f32_e32 v33, v41, v37
	v_mul_f32_e32 v44, s13, v33
	s_delay_alu instid0(VALU_DEP_1) | instskip(NEXT) | instid1(VALU_DEP_1)
	v_and_b32_e32 v33, 0x7f800000, v44
	v_cmp_ne_u32_e64 s1, 0x7f800000, v33
                                        ; implicit-def: $vgpr33
	s_delay_alu instid0(VALU_DEP_1) | instskip(NEXT) | instid1(SALU_CYCLE_1)
	s_and_saveexec_b32 s8, s1
	s_xor_b32 s1, exec_lo, s8
; %bb.53:
	v_bfe_u32 v33, v44, 16, 1
	s_delay_alu instid0(VALU_DEP_1)
	v_add3_u32 v33, v44, v33, 0x7fff
                                        ; implicit-def: $vgpr44
; %bb.54:
	s_and_not1_saveexec_b32 s8, s1
; %bb.55:
	v_and_b32_e32 v33, 0xffff, v44
	v_or_b32_e32 v45, 0x10000, v44
	s_delay_alu instid0(VALU_DEP_2) | instskip(NEXT) | instid1(VALU_DEP_1)
	v_cmp_eq_u32_e64 s1, 0, v33
	v_cndmask_b32_e64 v33, v45, v44, s1
; %bb.56:
	s_or_b32 exec_lo, exec_lo, s8
	v_sub_f32_e32 v134, v34, v38
	v_sub_f32_e32 v136, v58, v50
	;; [unrolled: 1-line block ×3, first 2 shown]
	s_delay_alu instid0(VALU_DEP_1) | instskip(NEXT) | instid1(VALU_DEP_1)
	v_dual_sub_f32 v135, v42, v46 :: v_dual_add_f32 v42, v136, v137
	v_add_f32_e32 v38, v134, v135
	s_delay_alu instid0(VALU_DEP_1) | instskip(NEXT) | instid1(VALU_DEP_1)
	v_add_f32_e32 v34, v42, v38
	v_mul_f32_e32 v44, s13, v34
	s_delay_alu instid0(VALU_DEP_1) | instskip(NEXT) | instid1(VALU_DEP_1)
	v_and_b32_e32 v34, 0x7f800000, v44
	v_cmp_ne_u32_e64 s1, 0x7f800000, v34
                                        ; implicit-def: $vgpr34
	s_delay_alu instid0(VALU_DEP_1) | instskip(NEXT) | instid1(SALU_CYCLE_1)
	s_and_saveexec_b32 s8, s1
	s_xor_b32 s1, exec_lo, s8
; %bb.57:
	v_bfe_u32 v34, v44, 16, 1
	s_delay_alu instid0(VALU_DEP_1)
	v_add3_u32 v34, v44, v34, 0x7fff
                                        ; implicit-def: $vgpr44
; %bb.58:
	s_and_not1_saveexec_b32 s8, s1
; %bb.59:
	v_and_b32_e32 v34, 0xffff, v44
	v_or_b32_e32 v45, 0x10000, v44
	s_delay_alu instid0(VALU_DEP_2) | instskip(NEXT) | instid1(VALU_DEP_1)
	v_cmp_eq_u32_e64 s1, 0, v34
	v_cndmask_b32_e64 v34, v45, v44, s1
; %bb.60:
	s_or_b32 exec_lo, exec_lo, s8
	v_sub_f32_e32 v139, v43, v47
	v_sub_f32_e32 v140, v59, v51
	;; [unrolled: 1-line block ×3, first 2 shown]
	s_delay_alu instid0(VALU_DEP_1) | instskip(NEXT) | instid1(VALU_DEP_1)
	v_dual_sub_f32 v138, v35, v39 :: v_dual_add_f32 v43, v140, v141
	v_add_f32_e32 v39, v138, v139
	s_delay_alu instid0(VALU_DEP_1) | instskip(NEXT) | instid1(VALU_DEP_1)
	v_add_f32_e32 v35, v43, v39
	v_mul_f32_e32 v44, s13, v35
	s_delay_alu instid0(VALU_DEP_1) | instskip(NEXT) | instid1(VALU_DEP_1)
	v_and_b32_e32 v35, 0x7f800000, v44
	v_cmp_ne_u32_e64 s1, 0x7f800000, v35
                                        ; implicit-def: $vgpr35
	s_delay_alu instid0(VALU_DEP_1) | instskip(NEXT) | instid1(SALU_CYCLE_1)
	s_and_saveexec_b32 s8, s1
	s_xor_b32 s1, exec_lo, s8
; %bb.61:
	v_bfe_u32 v35, v44, 16, 1
	s_delay_alu instid0(VALU_DEP_1)
	v_add3_u32 v35, v44, v35, 0x7fff
                                        ; implicit-def: $vgpr44
; %bb.62:
	s_and_not1_saveexec_b32 s8, s1
; %bb.63:
	v_and_b32_e32 v35, 0xffff, v44
	v_or_b32_e32 v45, 0x10000, v44
	s_delay_alu instid0(VALU_DEP_2) | instskip(NEXT) | instid1(VALU_DEP_1)
	v_cmp_eq_u32_e64 s1, 0, v35
	v_cndmask_b32_e64 v35, v45, v44, s1
; %bb.64:
	s_or_b32 exec_lo, exec_lo, s8
	v_sub_f32_e32 v142, v0, v4
	v_sub_f32_e32 v143, v8, v12
	;; [unrolled: 1-line block ×4, first 2 shown]
	s_delay_alu instid0(VALU_DEP_3) | instskip(NEXT) | instid1(VALU_DEP_2)
	v_add_f32_e32 v24, v142, v143
	v_add_f32_e32 v28, v16, v20
	s_delay_alu instid0(VALU_DEP_1) | instskip(NEXT) | instid1(VALU_DEP_1)
	v_add_f32_e32 v0, v28, v24
	v_mul_f32_e32 v4, s13, v0
	s_delay_alu instid0(VALU_DEP_1) | instskip(NEXT) | instid1(VALU_DEP_1)
	v_and_b32_e32 v0, 0x7f800000, v4
	v_cmp_ne_u32_e64 s1, 0x7f800000, v0
                                        ; implicit-def: $vgpr0
	s_delay_alu instid0(VALU_DEP_1) | instskip(NEXT) | instid1(SALU_CYCLE_1)
	s_and_saveexec_b32 s8, s1
	s_xor_b32 s1, exec_lo, s8
; %bb.65:
	v_bfe_u32 v0, v4, 16, 1
	s_delay_alu instid0(VALU_DEP_1)
	v_add3_u32 v0, v4, v0, 0x7fff
                                        ; implicit-def: $vgpr4
; %bb.66:
	s_and_not1_saveexec_b32 s8, s1
; %bb.67:
	v_and_b32_e32 v0, 0xffff, v4
	v_or_b32_e32 v8, 0x10000, v4
	s_delay_alu instid0(VALU_DEP_2) | instskip(NEXT) | instid1(VALU_DEP_1)
	v_cmp_eq_u32_e64 s1, 0, v0
	v_cndmask_b32_e64 v0, v8, v4, s1
; %bb.68:
	s_or_b32 exec_lo, exec_lo, s8
	v_sub_f32_e32 v144, v1, v5
	v_sub_f32_e32 v145, v9, v13
	;; [unrolled: 1-line block ×4, first 2 shown]
	s_delay_alu instid0(VALU_DEP_3) | instskip(NEXT) | instid1(VALU_DEP_2)
	v_add_f32_e32 v21, v144, v145
	v_add_f32_e32 v25, v17, v146
	s_delay_alu instid0(VALU_DEP_1) | instskip(NEXT) | instid1(VALU_DEP_1)
	v_add_f32_e32 v1, v25, v21
	v_mul_f32_e32 v4, s13, v1
	s_delay_alu instid0(VALU_DEP_1) | instskip(NEXT) | instid1(VALU_DEP_1)
	v_and_b32_e32 v1, 0x7f800000, v4
	v_cmp_ne_u32_e64 s1, 0x7f800000, v1
                                        ; implicit-def: $vgpr1
	s_delay_alu instid0(VALU_DEP_1) | instskip(NEXT) | instid1(SALU_CYCLE_1)
	s_and_saveexec_b32 s8, s1
	s_xor_b32 s1, exec_lo, s8
; %bb.69:
	v_bfe_u32 v1, v4, 16, 1
	s_delay_alu instid0(VALU_DEP_1)
	v_add3_u32 v1, v4, v1, 0x7fff
                                        ; implicit-def: $vgpr4
; %bb.70:
	s_and_not1_saveexec_b32 s8, s1
; %bb.71:
	v_and_b32_e32 v1, 0xffff, v4
	v_or_b32_e32 v5, 0x10000, v4
	s_delay_alu instid0(VALU_DEP_2) | instskip(NEXT) | instid1(VALU_DEP_1)
	v_cmp_eq_u32_e64 s1, 0, v1
	v_cndmask_b32_e64 v1, v5, v4, s1
; %bb.72:
	s_or_b32 exec_lo, exec_lo, s8
	v_sub_f32_e32 v147, v2, v6
	v_sub_f32_e32 v148, v10, v14
	;; [unrolled: 1-line block ×4, first 2 shown]
	s_delay_alu instid0(VALU_DEP_1) | instskip(NEXT) | instid1(VALU_DEP_1)
	v_dual_add_f32 v26, v147, v148 :: v_dual_add_f32 v29, v18, v22
	v_add_f32_e32 v2, v29, v26
	s_delay_alu instid0(VALU_DEP_1) | instskip(NEXT) | instid1(VALU_DEP_1)
	v_mul_f32_e32 v4, s13, v2
	v_and_b32_e32 v2, 0x7f800000, v4
	s_delay_alu instid0(VALU_DEP_1) | instskip(NEXT) | instid1(VALU_DEP_1)
	v_cmp_ne_u32_e64 s1, 0x7f800000, v2
                                        ; implicit-def: $vgpr2
	s_and_saveexec_b32 s8, s1
	s_delay_alu instid0(SALU_CYCLE_1)
	s_xor_b32 s1, exec_lo, s8
; %bb.73:
	v_bfe_u32 v2, v4, 16, 1
	s_delay_alu instid0(VALU_DEP_1)
	v_add3_u32 v2, v4, v2, 0x7fff
                                        ; implicit-def: $vgpr4
; %bb.74:
	s_and_not1_saveexec_b32 s8, s1
; %bb.75:
	v_and_b32_e32 v2, 0xffff, v4
	v_or_b32_e32 v5, 0x10000, v4
	s_delay_alu instid0(VALU_DEP_2) | instskip(NEXT) | instid1(VALU_DEP_1)
	v_cmp_eq_u32_e64 s1, 0, v2
	v_cndmask_b32_e64 v2, v5, v4, s1
; %bb.76:
	s_or_b32 exec_lo, exec_lo, s8
	v_sub_f32_e32 v149, v3, v7
	v_sub_f32_e32 v150, v11, v15
	;; [unrolled: 1-line block ×4, first 2 shown]
	s_delay_alu instid0(VALU_DEP_3) | instskip(NEXT) | instid1(VALU_DEP_2)
	v_add_f32_e32 v23, v149, v150
	v_add_f32_e32 v27, v19, v151
	s_delay_alu instid0(VALU_DEP_1) | instskip(NEXT) | instid1(VALU_DEP_1)
	v_add_f32_e32 v3, v27, v23
	v_mul_f32_e32 v4, s13, v3
	s_delay_alu instid0(VALU_DEP_1) | instskip(NEXT) | instid1(VALU_DEP_1)
	v_and_b32_e32 v3, 0x7f800000, v4
	v_cmp_ne_u32_e64 s1, 0x7f800000, v3
                                        ; implicit-def: $vgpr3
	s_delay_alu instid0(VALU_DEP_1) | instskip(NEXT) | instid1(SALU_CYCLE_1)
	s_and_saveexec_b32 s8, s1
	s_xor_b32 s1, exec_lo, s8
; %bb.77:
	v_bfe_u32 v3, v4, 16, 1
	s_delay_alu instid0(VALU_DEP_1)
	v_add3_u32 v3, v4, v3, 0x7fff
                                        ; implicit-def: $vgpr4
; %bb.78:
	s_and_not1_saveexec_b32 s8, s1
; %bb.79:
	v_and_b32_e32 v3, 0xffff, v4
	v_or_b32_e32 v5, 0x10000, v4
	s_delay_alu instid0(VALU_DEP_2) | instskip(NEXT) | instid1(VALU_DEP_1)
	v_cmp_eq_u32_e64 s1, 0, v3
	v_cndmask_b32_e64 v3, v5, v4, s1
; %bb.80:
	s_or_b32 exec_lo, exec_lo, s8
	v_dual_sub_f32 v30, v96, v97 :: v_dual_sub_f32 v31, v98, v99
	s_delay_alu instid0(VALU_DEP_1) | instskip(NEXT) | instid1(VALU_DEP_1)
	v_add_f32_e32 v4, v30, v31
	v_mul_f32_e32 v5, s13, v4
	s_delay_alu instid0(VALU_DEP_1) | instskip(NEXT) | instid1(VALU_DEP_1)
	v_and_b32_e32 v4, 0x7f800000, v5
	v_cmp_ne_u32_e64 s1, 0x7f800000, v4
                                        ; implicit-def: $vgpr4
	s_delay_alu instid0(VALU_DEP_1) | instskip(NEXT) | instid1(SALU_CYCLE_1)
	s_and_saveexec_b32 s8, s1
	s_xor_b32 s1, exec_lo, s8
; %bb.81:
	v_bfe_u32 v4, v5, 16, 1
	s_delay_alu instid0(VALU_DEP_1)
	v_add3_u32 v4, v5, v4, 0x7fff
                                        ; implicit-def: $vgpr5
; %bb.82:
	s_and_not1_saveexec_b32 s8, s1
; %bb.83:
	v_and_b32_e32 v4, 0xffff, v5
	v_or_b32_e32 v6, 0x10000, v5
	s_delay_alu instid0(VALU_DEP_2) | instskip(NEXT) | instid1(VALU_DEP_1)
	v_cmp_eq_u32_e64 s1, 0, v4
	v_cndmask_b32_e64 v4, v6, v5, s1
; %bb.84:
	s_or_b32 exec_lo, exec_lo, s8
	v_dual_sub_f32 v44, v100, v101 :: v_dual_sub_f32 v45, v102, v103
	s_delay_alu instid0(VALU_DEP_1) | instskip(NEXT) | instid1(VALU_DEP_1)
	v_add_f32_e32 v5, v44, v45
	v_mul_f32_e32 v6, s13, v5
	s_delay_alu instid0(VALU_DEP_1) | instskip(NEXT) | instid1(VALU_DEP_1)
	v_and_b32_e32 v5, 0x7f800000, v6
	v_cmp_ne_u32_e64 s1, 0x7f800000, v5
                                        ; implicit-def: $vgpr5
	s_delay_alu instid0(VALU_DEP_1) | instskip(NEXT) | instid1(SALU_CYCLE_1)
	s_and_saveexec_b32 s8, s1
	s_xor_b32 s1, exec_lo, s8
; %bb.85:
	v_bfe_u32 v5, v6, 16, 1
	s_delay_alu instid0(VALU_DEP_1)
	v_add3_u32 v5, v6, v5, 0x7fff
                                        ; implicit-def: $vgpr6
; %bb.86:
	s_and_not1_saveexec_b32 s8, s1
; %bb.87:
	v_and_b32_e32 v5, 0xffff, v6
	v_or_b32_e32 v7, 0x10000, v6
	s_delay_alu instid0(VALU_DEP_2) | instskip(NEXT) | instid1(VALU_DEP_1)
	v_cmp_eq_u32_e64 s1, 0, v5
	v_cndmask_b32_e64 v5, v7, v6, s1
; %bb.88:
	s_or_b32 exec_lo, exec_lo, s8
	v_dual_sub_f32 v46, v104, v105 :: v_dual_sub_f32 v47, v106, v107
	s_delay_alu instid0(VALU_DEP_1) | instskip(NEXT) | instid1(VALU_DEP_1)
	v_add_f32_e32 v6, v46, v47
	v_mul_f32_e32 v7, s13, v6
	s_delay_alu instid0(VALU_DEP_1) | instskip(NEXT) | instid1(VALU_DEP_1)
	v_and_b32_e32 v6, 0x7f800000, v7
	v_cmp_ne_u32_e64 s1, 0x7f800000, v6
                                        ; implicit-def: $vgpr6
	s_delay_alu instid0(VALU_DEP_1) | instskip(NEXT) | instid1(SALU_CYCLE_1)
	s_and_saveexec_b32 s8, s1
	s_xor_b32 s1, exec_lo, s8
; %bb.89:
	v_bfe_u32 v6, v7, 16, 1
	s_delay_alu instid0(VALU_DEP_1)
	v_add3_u32 v6, v7, v6, 0x7fff
                                        ; implicit-def: $vgpr7
; %bb.90:
	s_and_not1_saveexec_b32 s8, s1
; %bb.91:
	v_and_b32_e32 v6, 0xffff, v7
	v_or_b32_e32 v8, 0x10000, v7
	s_delay_alu instid0(VALU_DEP_2) | instskip(NEXT) | instid1(VALU_DEP_1)
	v_cmp_eq_u32_e64 s1, 0, v6
	v_cndmask_b32_e64 v6, v8, v7, s1
; %bb.92:
	s_or_b32 exec_lo, exec_lo, s8
	v_dual_sub_f32 v48, v108, v109 :: v_dual_sub_f32 v49, v110, v111
	s_delay_alu instid0(VALU_DEP_1) | instskip(NEXT) | instid1(VALU_DEP_1)
	v_add_f32_e32 v7, v48, v49
	v_mul_f32_e32 v8, s13, v7
	s_delay_alu instid0(VALU_DEP_1) | instskip(NEXT) | instid1(VALU_DEP_1)
	v_and_b32_e32 v7, 0x7f800000, v8
	v_cmp_ne_u32_e64 s1, 0x7f800000, v7
                                        ; implicit-def: $vgpr7
	s_delay_alu instid0(VALU_DEP_1) | instskip(NEXT) | instid1(SALU_CYCLE_1)
	s_and_saveexec_b32 s8, s1
	s_xor_b32 s1, exec_lo, s8
; %bb.93:
	v_bfe_u32 v7, v8, 16, 1
	s_delay_alu instid0(VALU_DEP_1)
	v_add3_u32 v7, v8, v7, 0x7fff
                                        ; implicit-def: $vgpr8
; %bb.94:
	s_and_not1_saveexec_b32 s8, s1
; %bb.95:
	v_and_b32_e32 v7, 0xffff, v8
	v_or_b32_e32 v9, 0x10000, v8
	s_delay_alu instid0(VALU_DEP_2) | instskip(NEXT) | instid1(VALU_DEP_1)
	v_cmp_eq_u32_e64 s1, 0, v7
	v_cndmask_b32_e64 v7, v9, v8, s1
; %bb.96:
	s_or_b32 exec_lo, exec_lo, s8
	v_dual_sub_f32 v50, v112, v113 :: v_dual_sub_f32 v51, v114, v115
	s_delay_alu instid0(VALU_DEP_1) | instskip(NEXT) | instid1(VALU_DEP_1)
	v_add_f32_e32 v8, v50, v51
	v_mul_f32_e32 v9, s13, v8
	s_delay_alu instid0(VALU_DEP_1) | instskip(NEXT) | instid1(VALU_DEP_1)
	v_and_b32_e32 v8, 0x7f800000, v9
	v_cmp_ne_u32_e64 s1, 0x7f800000, v8
                                        ; implicit-def: $vgpr8
	s_delay_alu instid0(VALU_DEP_1) | instskip(NEXT) | instid1(SALU_CYCLE_1)
	s_and_saveexec_b32 s8, s1
	s_xor_b32 s1, exec_lo, s8
; %bb.97:
	v_bfe_u32 v8, v9, 16, 1
	s_delay_alu instid0(VALU_DEP_1)
	v_add3_u32 v8, v9, v8, 0x7fff
                                        ; implicit-def: $vgpr9
; %bb.98:
	s_and_not1_saveexec_b32 s8, s1
; %bb.99:
	v_and_b32_e32 v8, 0xffff, v9
	v_or_b32_e32 v10, 0x10000, v9
	s_delay_alu instid0(VALU_DEP_2) | instskip(NEXT) | instid1(VALU_DEP_1)
	v_cmp_eq_u32_e64 s1, 0, v8
	v_cndmask_b32_e64 v8, v10, v9, s1
; %bb.100:
	s_or_b32 exec_lo, exec_lo, s8
	v_dual_sub_f32 v52, v116, v117 :: v_dual_sub_f32 v53, v118, v119
	s_delay_alu instid0(VALU_DEP_1) | instskip(NEXT) | instid1(VALU_DEP_1)
	v_add_f32_e32 v9, v52, v53
	v_mul_f32_e32 v10, s13, v9
	s_delay_alu instid0(VALU_DEP_1) | instskip(NEXT) | instid1(VALU_DEP_1)
	v_and_b32_e32 v9, 0x7f800000, v10
	v_cmp_ne_u32_e64 s1, 0x7f800000, v9
                                        ; implicit-def: $vgpr9
	s_delay_alu instid0(VALU_DEP_1) | instskip(NEXT) | instid1(SALU_CYCLE_1)
	s_and_saveexec_b32 s8, s1
	s_xor_b32 s1, exec_lo, s8
; %bb.101:
	v_bfe_u32 v9, v10, 16, 1
	s_delay_alu instid0(VALU_DEP_1)
	v_add3_u32 v9, v10, v9, 0x7fff
                                        ; implicit-def: $vgpr10
; %bb.102:
	s_and_not1_saveexec_b32 s8, s1
; %bb.103:
	v_and_b32_e32 v9, 0xffff, v10
	v_or_b32_e32 v11, 0x10000, v10
	s_delay_alu instid0(VALU_DEP_2) | instskip(NEXT) | instid1(VALU_DEP_1)
	v_cmp_eq_u32_e64 s1, 0, v9
	v_cndmask_b32_e64 v9, v11, v10, s1
; %bb.104:
	s_or_b32 exec_lo, exec_lo, s8
	v_dual_sub_f32 v54, v120, v121 :: v_dual_sub_f32 v55, v122, v123
	s_delay_alu instid0(VALU_DEP_1) | instskip(NEXT) | instid1(VALU_DEP_1)
	v_add_f32_e32 v10, v54, v55
	v_mul_f32_e32 v11, s13, v10
	s_delay_alu instid0(VALU_DEP_1) | instskip(NEXT) | instid1(VALU_DEP_1)
	v_and_b32_e32 v10, 0x7f800000, v11
	v_cmp_ne_u32_e64 s1, 0x7f800000, v10
                                        ; implicit-def: $vgpr10
	s_delay_alu instid0(VALU_DEP_1) | instskip(NEXT) | instid1(SALU_CYCLE_1)
	s_and_saveexec_b32 s8, s1
	s_xor_b32 s1, exec_lo, s8
; %bb.105:
	v_bfe_u32 v10, v11, 16, 1
	s_delay_alu instid0(VALU_DEP_1)
	v_add3_u32 v10, v11, v10, 0x7fff
                                        ; implicit-def: $vgpr11
; %bb.106:
	s_and_not1_saveexec_b32 s8, s1
; %bb.107:
	v_and_b32_e32 v10, 0xffff, v11
	v_or_b32_e32 v12, 0x10000, v11
	s_delay_alu instid0(VALU_DEP_2) | instskip(NEXT) | instid1(VALU_DEP_1)
	v_cmp_eq_u32_e64 s1, 0, v10
	v_cndmask_b32_e64 v10, v12, v11, s1
; %bb.108:
	s_or_b32 exec_lo, exec_lo, s8
	v_dual_sub_f32 v56, v124, v125 :: v_dual_sub_f32 v57, v126, v127
	s_delay_alu instid0(VALU_DEP_1) | instskip(NEXT) | instid1(VALU_DEP_1)
	v_add_f32_e32 v11, v56, v57
	v_mul_f32_e32 v12, s13, v11
	s_delay_alu instid0(VALU_DEP_1) | instskip(NEXT) | instid1(VALU_DEP_1)
	v_and_b32_e32 v11, 0x7f800000, v12
	v_cmp_ne_u32_e64 s1, 0x7f800000, v11
                                        ; implicit-def: $vgpr11
	s_delay_alu instid0(VALU_DEP_1) | instskip(NEXT) | instid1(SALU_CYCLE_1)
	s_and_saveexec_b32 s8, s1
	s_xor_b32 s1, exec_lo, s8
; %bb.109:
	v_bfe_u32 v11, v12, 16, 1
	s_delay_alu instid0(VALU_DEP_1)
	v_add3_u32 v11, v12, v11, 0x7fff
                                        ; implicit-def: $vgpr12
; %bb.110:
	s_and_not1_saveexec_b32 s8, s1
; %bb.111:
	v_and_b32_e32 v11, 0xffff, v12
	v_or_b32_e32 v13, 0x10000, v12
	s_delay_alu instid0(VALU_DEP_2) | instskip(NEXT) | instid1(VALU_DEP_1)
	v_cmp_eq_u32_e64 s1, 0, v11
	v_cndmask_b32_e64 v11, v13, v12, s1
; %bb.112:
	s_or_b32 exec_lo, exec_lo, s8
	v_dual_sub_f32 v58, v128, v129 :: v_dual_sub_f32 v59, v130, v60
	s_delay_alu instid0(VALU_DEP_1) | instskip(NEXT) | instid1(VALU_DEP_1)
	v_add_f32_e32 v12, v58, v59
	v_mul_f32_e32 v13, s13, v12
	s_delay_alu instid0(VALU_DEP_1) | instskip(NEXT) | instid1(VALU_DEP_1)
	v_and_b32_e32 v12, 0x7f800000, v13
	v_cmp_ne_u32_e64 s1, 0x7f800000, v12
                                        ; implicit-def: $vgpr12
	s_delay_alu instid0(VALU_DEP_1) | instskip(NEXT) | instid1(SALU_CYCLE_1)
	s_and_saveexec_b32 s8, s1
	s_xor_b32 s1, exec_lo, s8
; %bb.113:
	v_bfe_u32 v12, v13, 16, 1
	s_delay_alu instid0(VALU_DEP_1)
	v_add3_u32 v12, v13, v12, 0x7fff
                                        ; implicit-def: $vgpr13
; %bb.114:
	s_and_not1_saveexec_b32 s8, s1
; %bb.115:
	v_and_b32_e32 v12, 0xffff, v13
	v_or_b32_e32 v14, 0x10000, v13
	s_delay_alu instid0(VALU_DEP_2) | instskip(NEXT) | instid1(VALU_DEP_1)
	v_cmp_eq_u32_e64 s1, 0, v12
	v_cndmask_b32_e64 v12, v14, v13, s1
; %bb.116:
	s_or_b32 exec_lo, exec_lo, s8
	v_dual_sub_f32 v60, v131, v132 :: v_dual_sub_f32 v61, v133, v61
	s_delay_alu instid0(VALU_DEP_1) | instskip(NEXT) | instid1(VALU_DEP_1)
	v_add_f32_e32 v13, v60, v61
	v_mul_f32_e32 v14, s13, v13
	s_delay_alu instid0(VALU_DEP_1) | instskip(NEXT) | instid1(VALU_DEP_1)
	v_and_b32_e32 v13, 0x7f800000, v14
	v_cmp_ne_u32_e64 s1, 0x7f800000, v13
                                        ; implicit-def: $vgpr13
	s_delay_alu instid0(VALU_DEP_1) | instskip(NEXT) | instid1(SALU_CYCLE_1)
	s_and_saveexec_b32 s8, s1
	s_xor_b32 s1, exec_lo, s8
; %bb.117:
	v_bfe_u32 v13, v14, 16, 1
	s_delay_alu instid0(VALU_DEP_1)
	v_add3_u32 v13, v14, v13, 0x7fff
                                        ; implicit-def: $vgpr14
; %bb.118:
	s_and_not1_saveexec_b32 s8, s1
; %bb.119:
	v_and_b32_e32 v13, 0xffff, v14
	v_or_b32_e32 v15, 0x10000, v14
	s_delay_alu instid0(VALU_DEP_2) | instskip(NEXT) | instid1(VALU_DEP_1)
	v_cmp_eq_u32_e64 s1, 0, v13
	v_cndmask_b32_e64 v13, v15, v14, s1
; %bb.120:
	s_or_b32 exec_lo, exec_lo, s8
	v_dual_sub_f32 v62, v134, v135 :: v_dual_sub_f32 v63, v136, v137
	s_delay_alu instid0(VALU_DEP_1) | instskip(NEXT) | instid1(VALU_DEP_1)
	v_add_f32_e32 v14, v62, v63
	v_mul_f32_e32 v15, s13, v14
	s_delay_alu instid0(VALU_DEP_1) | instskip(NEXT) | instid1(VALU_DEP_1)
	v_and_b32_e32 v14, 0x7f800000, v15
	v_cmp_ne_u32_e64 s1, 0x7f800000, v14
                                        ; implicit-def: $vgpr14
	s_delay_alu instid0(VALU_DEP_1) | instskip(NEXT) | instid1(SALU_CYCLE_1)
	s_and_saveexec_b32 s8, s1
	s_xor_b32 s1, exec_lo, s8
; %bb.121:
	v_bfe_u32 v14, v15, 16, 1
	s_delay_alu instid0(VALU_DEP_1)
	v_add3_u32 v14, v15, v14, 0x7fff
                                        ; implicit-def: $vgpr15
; %bb.122:
	s_and_not1_saveexec_b32 s8, s1
; %bb.123:
	v_and_b32_e32 v14, 0xffff, v15
	v_or_b32_e32 v96, 0x10000, v15
	s_delay_alu instid0(VALU_DEP_2) | instskip(NEXT) | instid1(VALU_DEP_1)
	v_cmp_eq_u32_e64 s1, 0, v14
	v_cndmask_b32_e64 v14, v96, v15, s1
; %bb.124:
	s_or_b32 exec_lo, exec_lo, s8
	v_dual_sub_f32 v96, v138, v139 :: v_dual_sub_f32 v97, v140, v141
	s_delay_alu instid0(VALU_DEP_1) | instskip(NEXT) | instid1(VALU_DEP_1)
	v_add_f32_e32 v15, v96, v97
	v_mul_f32_e32 v98, s13, v15
	s_delay_alu instid0(VALU_DEP_1) | instskip(NEXT) | instid1(VALU_DEP_1)
	v_and_b32_e32 v15, 0x7f800000, v98
	v_cmp_ne_u32_e64 s1, 0x7f800000, v15
                                        ; implicit-def: $vgpr15
	s_delay_alu instid0(VALU_DEP_1) | instskip(NEXT) | instid1(SALU_CYCLE_1)
	s_and_saveexec_b32 s8, s1
	s_xor_b32 s1, exec_lo, s8
; %bb.125:
	v_bfe_u32 v15, v98, 16, 1
	s_delay_alu instid0(VALU_DEP_1)
	v_add3_u32 v15, v98, v15, 0x7fff
                                        ; implicit-def: $vgpr98
; %bb.126:
	s_and_not1_saveexec_b32 s8, s1
; %bb.127:
	v_and_b32_e32 v15, 0xffff, v98
	v_or_b32_e32 v99, 0x10000, v98
	s_delay_alu instid0(VALU_DEP_2) | instskip(NEXT) | instid1(VALU_DEP_1)
	v_cmp_eq_u32_e64 s1, 0, v15
	v_cndmask_b32_e64 v15, v99, v98, s1
; %bb.128:
	s_or_b32 exec_lo, exec_lo, s8
	v_dual_sub_f32 v98, v142, v143 :: v_dual_sub_f32 v99, v16, v20
	s_delay_alu instid0(VALU_DEP_1) | instskip(NEXT) | instid1(VALU_DEP_1)
	v_add_f32_e32 v16, v98, v99
	v_mul_f32_e32 v20, s13, v16
	s_delay_alu instid0(VALU_DEP_1) | instskip(NEXT) | instid1(VALU_DEP_1)
	v_and_b32_e32 v16, 0x7f800000, v20
	v_cmp_ne_u32_e64 s1, 0x7f800000, v16
                                        ; implicit-def: $vgpr16
	s_delay_alu instid0(VALU_DEP_1) | instskip(NEXT) | instid1(SALU_CYCLE_1)
	s_and_saveexec_b32 s8, s1
	s_xor_b32 s1, exec_lo, s8
; %bb.129:
	v_bfe_u32 v16, v20, 16, 1
	s_delay_alu instid0(VALU_DEP_1)
	v_add3_u32 v16, v20, v16, 0x7fff
                                        ; implicit-def: $vgpr20
; %bb.130:
	s_and_not1_saveexec_b32 s8, s1
; %bb.131:
	v_and_b32_e32 v16, 0xffff, v20
	v_or_b32_e32 v100, 0x10000, v20
	s_delay_alu instid0(VALU_DEP_2) | instskip(NEXT) | instid1(VALU_DEP_1)
	v_cmp_eq_u32_e64 s1, 0, v16
	v_cndmask_b32_e64 v16, v100, v20, s1
; %bb.132:
	s_or_b32 exec_lo, exec_lo, s8
	v_dual_sub_f32 v100, v144, v145 :: v_dual_sub_f32 v101, v17, v146
	s_delay_alu instid0(VALU_DEP_1) | instskip(NEXT) | instid1(VALU_DEP_1)
	v_add_f32_e32 v17, v100, v101
	v_mul_f32_e32 v20, s13, v17
	s_delay_alu instid0(VALU_DEP_1) | instskip(NEXT) | instid1(VALU_DEP_1)
	v_and_b32_e32 v17, 0x7f800000, v20
	v_cmp_ne_u32_e64 s1, 0x7f800000, v17
                                        ; implicit-def: $vgpr17
	s_delay_alu instid0(VALU_DEP_1) | instskip(NEXT) | instid1(SALU_CYCLE_1)
	s_and_saveexec_b32 s8, s1
	s_xor_b32 s1, exec_lo, s8
; %bb.133:
	v_bfe_u32 v17, v20, 16, 1
	s_delay_alu instid0(VALU_DEP_1)
	v_add3_u32 v17, v20, v17, 0x7fff
                                        ; implicit-def: $vgpr20
; %bb.134:
	s_and_not1_saveexec_b32 s8, s1
; %bb.135:
	v_and_b32_e32 v17, 0xffff, v20
	v_or_b32_e32 v102, 0x10000, v20
	s_delay_alu instid0(VALU_DEP_2) | instskip(NEXT) | instid1(VALU_DEP_1)
	v_cmp_eq_u32_e64 s1, 0, v17
	v_cndmask_b32_e64 v17, v102, v20, s1
; %bb.136:
	s_or_b32 exec_lo, exec_lo, s8
	v_dual_sub_f32 v102, v147, v148 :: v_dual_sub_f32 v103, v18, v22
	s_delay_alu instid0(VALU_DEP_1) | instskip(NEXT) | instid1(VALU_DEP_1)
	v_add_f32_e32 v18, v102, v103
	v_mul_f32_e32 v20, s13, v18
	s_delay_alu instid0(VALU_DEP_1) | instskip(NEXT) | instid1(VALU_DEP_1)
	v_and_b32_e32 v18, 0x7f800000, v20
	v_cmp_ne_u32_e64 s1, 0x7f800000, v18
                                        ; implicit-def: $vgpr18
	s_delay_alu instid0(VALU_DEP_1) | instskip(NEXT) | instid1(SALU_CYCLE_1)
	s_and_saveexec_b32 s8, s1
	s_xor_b32 s1, exec_lo, s8
; %bb.137:
	v_bfe_u32 v18, v20, 16, 1
	s_delay_alu instid0(VALU_DEP_1)
	v_add3_u32 v18, v20, v18, 0x7fff
                                        ; implicit-def: $vgpr20
; %bb.138:
	s_and_not1_saveexec_b32 s8, s1
; %bb.139:
	v_and_b32_e32 v18, 0xffff, v20
	v_or_b32_e32 v22, 0x10000, v20
	s_delay_alu instid0(VALU_DEP_2) | instskip(NEXT) | instid1(VALU_DEP_1)
	v_cmp_eq_u32_e64 s1, 0, v18
	v_cndmask_b32_e64 v18, v22, v20, s1
; %bb.140:
	s_or_b32 exec_lo, exec_lo, s8
	v_dual_sub_f32 v104, v149, v150 :: v_dual_sub_f32 v105, v19, v151
	s_delay_alu instid0(VALU_DEP_1) | instskip(NEXT) | instid1(VALU_DEP_1)
	v_add_f32_e32 v19, v104, v105
	v_mul_f32_e32 v20, s13, v19
	s_delay_alu instid0(VALU_DEP_1) | instskip(NEXT) | instid1(VALU_DEP_1)
	v_and_b32_e32 v19, 0x7f800000, v20
	v_cmp_ne_u32_e64 s1, 0x7f800000, v19
                                        ; implicit-def: $vgpr19
	s_delay_alu instid0(VALU_DEP_1) | instskip(NEXT) | instid1(SALU_CYCLE_1)
	s_and_saveexec_b32 s8, s1
	s_xor_b32 s1, exec_lo, s8
; %bb.141:
	v_bfe_u32 v19, v20, 16, 1
	s_delay_alu instid0(VALU_DEP_1)
	v_add3_u32 v19, v20, v19, 0x7fff
                                        ; implicit-def: $vgpr20
; %bb.142:
	s_and_not1_saveexec_b32 s8, s1
; %bb.143:
	v_and_b32_e32 v19, 0xffff, v20
	v_or_b32_e32 v22, 0x10000, v20
	s_delay_alu instid0(VALU_DEP_2) | instskip(NEXT) | instid1(VALU_DEP_1)
	v_cmp_eq_u32_e64 s1, 0, v19
	v_cndmask_b32_e64 v19, v22, v20, s1
; %bb.144:
	s_or_b32 exec_lo, exec_lo, s8
	v_sub_f32_e32 v20, v80, v81
	s_delay_alu instid0(VALU_DEP_1) | instskip(NEXT) | instid1(VALU_DEP_1)
	v_mul_f32_e32 v22, s13, v20
	v_and_b32_e32 v20, 0x7f800000, v22
	s_delay_alu instid0(VALU_DEP_1) | instskip(NEXT) | instid1(VALU_DEP_1)
	v_cmp_ne_u32_e64 s1, 0x7f800000, v20
                                        ; implicit-def: $vgpr20
	s_and_saveexec_b32 s8, s1
	s_delay_alu instid0(SALU_CYCLE_1)
	s_xor_b32 s1, exec_lo, s8
; %bb.145:
	v_bfe_u32 v20, v22, 16, 1
	s_delay_alu instid0(VALU_DEP_1)
	v_add3_u32 v20, v22, v20, 0x7fff
                                        ; implicit-def: $vgpr22
; %bb.146:
	s_and_not1_saveexec_b32 s8, s1
; %bb.147:
	v_and_b32_e32 v20, 0xffff, v22
	v_or_b32_e32 v80, 0x10000, v22
	s_delay_alu instid0(VALU_DEP_2) | instskip(NEXT) | instid1(VALU_DEP_1)
	v_cmp_eq_u32_e64 s1, 0, v20
	v_cndmask_b32_e64 v20, v80, v22, s1
; %bb.148:
	s_or_b32 exec_lo, exec_lo, s8
	v_sub_f32_e32 v22, v82, v83
	s_delay_alu instid0(VALU_DEP_1) | instskip(NEXT) | instid1(VALU_DEP_1)
	v_mul_f32_e32 v80, s13, v22
	v_and_b32_e32 v22, 0x7f800000, v80
	s_delay_alu instid0(VALU_DEP_1) | instskip(NEXT) | instid1(VALU_DEP_1)
	v_cmp_ne_u32_e64 s1, 0x7f800000, v22
                                        ; implicit-def: $vgpr22
	s_and_saveexec_b32 s8, s1
	s_delay_alu instid0(SALU_CYCLE_1)
	s_xor_b32 s1, exec_lo, s8
; %bb.149:
	v_bfe_u32 v22, v80, 16, 1
	s_delay_alu instid0(VALU_DEP_1)
	v_add3_u32 v22, v80, v22, 0x7fff
                                        ; implicit-def: $vgpr80
; %bb.150:
	s_and_not1_saveexec_b32 s8, s1
; %bb.151:
	v_and_b32_e32 v22, 0xffff, v80
	v_or_b32_e32 v81, 0x10000, v80
	s_delay_alu instid0(VALU_DEP_2) | instskip(NEXT) | instid1(VALU_DEP_1)
	v_cmp_eq_u32_e64 s1, 0, v22
	v_cndmask_b32_e64 v22, v81, v80, s1
; %bb.152:
	s_or_b32 exec_lo, exec_lo, s8
	v_sub_f32_e32 v80, v84, v85
	s_delay_alu instid0(VALU_DEP_1) | instskip(NEXT) | instid1(VALU_DEP_1)
	v_mul_f32_e32 v81, s13, v80
	v_and_b32_e32 v80, 0x7f800000, v81
	s_delay_alu instid0(VALU_DEP_1) | instskip(NEXT) | instid1(VALU_DEP_1)
	v_cmp_ne_u32_e64 s1, 0x7f800000, v80
                                        ; implicit-def: $vgpr80
	s_and_saveexec_b32 s8, s1
	s_delay_alu instid0(SALU_CYCLE_1)
	s_xor_b32 s1, exec_lo, s8
; %bb.153:
	v_bfe_u32 v80, v81, 16, 1
	s_delay_alu instid0(VALU_DEP_1)
	v_add3_u32 v80, v81, v80, 0x7fff
                                        ; implicit-def: $vgpr81
; %bb.154:
	s_and_not1_saveexec_b32 s8, s1
; %bb.155:
	v_and_b32_e32 v80, 0xffff, v81
	v_or_b32_e32 v82, 0x10000, v81
	s_delay_alu instid0(VALU_DEP_2) | instskip(NEXT) | instid1(VALU_DEP_1)
	v_cmp_eq_u32_e64 s1, 0, v80
	v_cndmask_b32_e64 v80, v82, v81, s1
; %bb.156:
	s_or_b32 exec_lo, exec_lo, s8
	v_sub_f32_e32 v81, v86, v87
	s_delay_alu instid0(VALU_DEP_1) | instskip(NEXT) | instid1(VALU_DEP_1)
	v_mul_f32_e32 v82, s13, v81
	v_and_b32_e32 v81, 0x7f800000, v82
	s_delay_alu instid0(VALU_DEP_1) | instskip(NEXT) | instid1(VALU_DEP_1)
	v_cmp_ne_u32_e64 s1, 0x7f800000, v81
                                        ; implicit-def: $vgpr81
	s_and_saveexec_b32 s8, s1
	s_delay_alu instid0(SALU_CYCLE_1)
	s_xor_b32 s1, exec_lo, s8
; %bb.157:
	v_bfe_u32 v81, v82, 16, 1
	s_delay_alu instid0(VALU_DEP_1)
	v_add3_u32 v81, v82, v81, 0x7fff
                                        ; implicit-def: $vgpr82
; %bb.158:
	s_and_not1_saveexec_b32 s8, s1
; %bb.159:
	v_and_b32_e32 v81, 0xffff, v82
	v_or_b32_e32 v83, 0x10000, v82
	s_delay_alu instid0(VALU_DEP_2) | instskip(NEXT) | instid1(VALU_DEP_1)
	v_cmp_eq_u32_e64 s1, 0, v81
	v_cndmask_b32_e64 v81, v83, v82, s1
; %bb.160:
	s_or_b32 exec_lo, exec_lo, s8
	v_sub_f32_e32 v82, v88, v89
	s_delay_alu instid0(VALU_DEP_1) | instskip(NEXT) | instid1(VALU_DEP_1)
	v_mul_f32_e32 v83, s13, v82
	v_and_b32_e32 v82, 0x7f800000, v83
	s_delay_alu instid0(VALU_DEP_1) | instskip(NEXT) | instid1(VALU_DEP_1)
	v_cmp_ne_u32_e64 s1, 0x7f800000, v82
                                        ; implicit-def: $vgpr82
	s_and_saveexec_b32 s8, s1
	s_delay_alu instid0(SALU_CYCLE_1)
	s_xor_b32 s1, exec_lo, s8
; %bb.161:
	v_bfe_u32 v82, v83, 16, 1
	s_delay_alu instid0(VALU_DEP_1)
	v_add3_u32 v82, v83, v82, 0x7fff
                                        ; implicit-def: $vgpr83
; %bb.162:
	s_and_not1_saveexec_b32 s8, s1
; %bb.163:
	v_and_b32_e32 v82, 0xffff, v83
	v_or_b32_e32 v84, 0x10000, v83
	s_delay_alu instid0(VALU_DEP_2) | instskip(NEXT) | instid1(VALU_DEP_1)
	v_cmp_eq_u32_e64 s1, 0, v82
	v_cndmask_b32_e64 v82, v84, v83, s1
; %bb.164:
	s_or_b32 exec_lo, exec_lo, s8
	v_sub_f32_e32 v83, v90, v91
	s_delay_alu instid0(VALU_DEP_1) | instskip(NEXT) | instid1(VALU_DEP_1)
	v_mul_f32_e32 v84, s13, v83
	v_and_b32_e32 v83, 0x7f800000, v84
	s_delay_alu instid0(VALU_DEP_1) | instskip(NEXT) | instid1(VALU_DEP_1)
	v_cmp_ne_u32_e64 s1, 0x7f800000, v83
                                        ; implicit-def: $vgpr83
	s_and_saveexec_b32 s8, s1
	s_delay_alu instid0(SALU_CYCLE_1)
	s_xor_b32 s1, exec_lo, s8
; %bb.165:
	v_bfe_u32 v83, v84, 16, 1
	s_delay_alu instid0(VALU_DEP_1)
	v_add3_u32 v83, v84, v83, 0x7fff
                                        ; implicit-def: $vgpr84
; %bb.166:
	s_and_not1_saveexec_b32 s8, s1
; %bb.167:
	v_and_b32_e32 v83, 0xffff, v84
	v_or_b32_e32 v85, 0x10000, v84
	s_delay_alu instid0(VALU_DEP_2) | instskip(NEXT) | instid1(VALU_DEP_1)
	v_cmp_eq_u32_e64 s1, 0, v83
	v_cndmask_b32_e64 v83, v85, v84, s1
; %bb.168:
	s_or_b32 exec_lo, exec_lo, s8
	v_sub_f32_e32 v84, v92, v93
	s_delay_alu instid0(VALU_DEP_1) | instskip(NEXT) | instid1(VALU_DEP_1)
	v_mul_f32_e32 v85, s13, v84
	v_and_b32_e32 v84, 0x7f800000, v85
	s_delay_alu instid0(VALU_DEP_1) | instskip(NEXT) | instid1(VALU_DEP_1)
	v_cmp_ne_u32_e64 s1, 0x7f800000, v84
                                        ; implicit-def: $vgpr84
	s_and_saveexec_b32 s8, s1
	s_delay_alu instid0(SALU_CYCLE_1)
	s_xor_b32 s1, exec_lo, s8
; %bb.169:
	v_bfe_u32 v84, v85, 16, 1
	s_delay_alu instid0(VALU_DEP_1)
	v_add3_u32 v84, v85, v84, 0x7fff
                                        ; implicit-def: $vgpr85
; %bb.170:
	s_and_not1_saveexec_b32 s8, s1
; %bb.171:
	v_and_b32_e32 v84, 0xffff, v85
	v_or_b32_e32 v86, 0x10000, v85
	s_delay_alu instid0(VALU_DEP_2) | instskip(NEXT) | instid1(VALU_DEP_1)
	v_cmp_eq_u32_e64 s1, 0, v84
	v_cndmask_b32_e64 v84, v86, v85, s1
; %bb.172:
	s_or_b32 exec_lo, exec_lo, s8
	v_sub_f32_e32 v85, v94, v95
	s_delay_alu instid0(VALU_DEP_1) | instskip(NEXT) | instid1(VALU_DEP_1)
	v_mul_f32_e32 v86, s13, v85
	v_and_b32_e32 v85, 0x7f800000, v86
	s_delay_alu instid0(VALU_DEP_1) | instskip(NEXT) | instid1(VALU_DEP_1)
	v_cmp_ne_u32_e64 s1, 0x7f800000, v85
                                        ; implicit-def: $vgpr85
	s_and_saveexec_b32 s8, s1
	s_delay_alu instid0(SALU_CYCLE_1)
	s_xor_b32 s1, exec_lo, s8
; %bb.173:
	v_bfe_u32 v85, v86, 16, 1
	s_delay_alu instid0(VALU_DEP_1)
	v_add3_u32 v85, v86, v85, 0x7fff
                                        ; implicit-def: $vgpr86
; %bb.174:
	s_and_not1_saveexec_b32 s8, s1
; %bb.175:
	v_and_b32_e32 v85, 0xffff, v86
	v_or_b32_e32 v87, 0x10000, v86
	s_delay_alu instid0(VALU_DEP_2) | instskip(NEXT) | instid1(VALU_DEP_1)
	v_cmp_eq_u32_e64 s1, 0, v85
	v_cndmask_b32_e64 v85, v87, v86, s1
; %bb.176:
	s_or_b32 exec_lo, exec_lo, s8
	v_sub_f32_e32 v36, v36, v40
	s_delay_alu instid0(VALU_DEP_1) | instskip(NEXT) | instid1(VALU_DEP_1)
	v_mul_f32_e32 v40, s13, v36
	v_and_b32_e32 v36, 0x7f800000, v40
	s_delay_alu instid0(VALU_DEP_1) | instskip(NEXT) | instid1(VALU_DEP_1)
	v_cmp_ne_u32_e64 s1, 0x7f800000, v36
                                        ; implicit-def: $vgpr36
	s_and_saveexec_b32 s8, s1
	s_delay_alu instid0(SALU_CYCLE_1)
	s_xor_b32 s1, exec_lo, s8
; %bb.177:
	v_bfe_u32 v36, v40, 16, 1
	s_delay_alu instid0(VALU_DEP_1)
	v_add3_u32 v36, v40, v36, 0x7fff
                                        ; implicit-def: $vgpr40
; %bb.178:
	s_and_not1_saveexec_b32 s8, s1
; %bb.179:
	v_and_b32_e32 v36, 0xffff, v40
	v_or_b32_e32 v86, 0x10000, v40
	s_delay_alu instid0(VALU_DEP_2) | instskip(NEXT) | instid1(VALU_DEP_1)
	v_cmp_eq_u32_e64 s1, 0, v36
	v_cndmask_b32_e64 v36, v86, v40, s1
; %bb.180:
	s_or_b32 exec_lo, exec_lo, s8
	v_sub_f32_e32 v37, v37, v41
	s_delay_alu instid0(VALU_DEP_1) | instskip(NEXT) | instid1(VALU_DEP_1)
	v_mul_f32_e32 v40, s13, v37
	v_and_b32_e32 v37, 0x7f800000, v40
	s_delay_alu instid0(VALU_DEP_1) | instskip(NEXT) | instid1(VALU_DEP_1)
	v_cmp_ne_u32_e64 s1, 0x7f800000, v37
                                        ; implicit-def: $vgpr37
	s_and_saveexec_b32 s8, s1
	s_delay_alu instid0(SALU_CYCLE_1)
	s_xor_b32 s1, exec_lo, s8
; %bb.181:
	v_bfe_u32 v37, v40, 16, 1
	s_delay_alu instid0(VALU_DEP_1)
	v_add3_u32 v37, v40, v37, 0x7fff
                                        ; implicit-def: $vgpr40
; %bb.182:
	s_and_not1_saveexec_b32 s8, s1
; %bb.183:
	v_and_b32_e32 v37, 0xffff, v40
	v_or_b32_e32 v41, 0x10000, v40
	s_delay_alu instid0(VALU_DEP_2) | instskip(NEXT) | instid1(VALU_DEP_1)
	v_cmp_eq_u32_e64 s1, 0, v37
	v_cndmask_b32_e64 v37, v41, v40, s1
; %bb.184:
	s_or_b32 exec_lo, exec_lo, s8
	v_sub_f32_e32 v38, v38, v42
	s_delay_alu instid0(VALU_DEP_1) | instskip(NEXT) | instid1(VALU_DEP_1)
	v_mul_f32_e32 v40, s13, v38
	v_and_b32_e32 v38, 0x7f800000, v40
	s_delay_alu instid0(VALU_DEP_1) | instskip(NEXT) | instid1(VALU_DEP_1)
	v_cmp_ne_u32_e64 s1, 0x7f800000, v38
                                        ; implicit-def: $vgpr38
	s_and_saveexec_b32 s8, s1
	s_delay_alu instid0(SALU_CYCLE_1)
	s_xor_b32 s1, exec_lo, s8
; %bb.185:
	v_bfe_u32 v38, v40, 16, 1
	s_delay_alu instid0(VALU_DEP_1)
	v_add3_u32 v38, v40, v38, 0x7fff
                                        ; implicit-def: $vgpr40
; %bb.186:
	s_and_not1_saveexec_b32 s8, s1
; %bb.187:
	v_and_b32_e32 v38, 0xffff, v40
	v_or_b32_e32 v41, 0x10000, v40
	s_delay_alu instid0(VALU_DEP_2) | instskip(NEXT) | instid1(VALU_DEP_1)
	v_cmp_eq_u32_e64 s1, 0, v38
	v_cndmask_b32_e64 v38, v41, v40, s1
; %bb.188:
	s_or_b32 exec_lo, exec_lo, s8
	v_sub_f32_e32 v39, v39, v43
	s_delay_alu instid0(VALU_DEP_1) | instskip(NEXT) | instid1(VALU_DEP_1)
	v_mul_f32_e32 v40, s13, v39
	v_and_b32_e32 v39, 0x7f800000, v40
	s_delay_alu instid0(VALU_DEP_1) | instskip(NEXT) | instid1(VALU_DEP_1)
	v_cmp_ne_u32_e64 s1, 0x7f800000, v39
                                        ; implicit-def: $vgpr39
	s_and_saveexec_b32 s8, s1
	s_delay_alu instid0(SALU_CYCLE_1)
	s_xor_b32 s1, exec_lo, s8
; %bb.189:
	v_bfe_u32 v39, v40, 16, 1
	s_delay_alu instid0(VALU_DEP_1)
	v_add3_u32 v39, v40, v39, 0x7fff
                                        ; implicit-def: $vgpr40
; %bb.190:
	s_and_not1_saveexec_b32 s8, s1
; %bb.191:
	v_and_b32_e32 v39, 0xffff, v40
	v_or_b32_e32 v41, 0x10000, v40
	s_delay_alu instid0(VALU_DEP_2) | instskip(NEXT) | instid1(VALU_DEP_1)
	v_cmp_eq_u32_e64 s1, 0, v39
	v_cndmask_b32_e64 v39, v41, v40, s1
; %bb.192:
	s_or_b32 exec_lo, exec_lo, s8
	v_sub_f32_e32 v24, v24, v28
	s_delay_alu instid0(VALU_DEP_1) | instskip(NEXT) | instid1(VALU_DEP_1)
	v_mul_f32_e32 v28, s13, v24
	v_and_b32_e32 v24, 0x7f800000, v28
	s_delay_alu instid0(VALU_DEP_1) | instskip(NEXT) | instid1(VALU_DEP_1)
	v_cmp_ne_u32_e64 s1, 0x7f800000, v24
                                        ; implicit-def: $vgpr24
	s_and_saveexec_b32 s8, s1
	s_delay_alu instid0(SALU_CYCLE_1)
	s_xor_b32 s1, exec_lo, s8
; %bb.193:
	v_bfe_u32 v24, v28, 16, 1
	s_delay_alu instid0(VALU_DEP_1)
	v_add3_u32 v24, v28, v24, 0x7fff
                                        ; implicit-def: $vgpr28
; %bb.194:
	s_and_not1_saveexec_b32 s8, s1
; %bb.195:
	v_and_b32_e32 v24, 0xffff, v28
	v_or_b32_e32 v40, 0x10000, v28
	s_delay_alu instid0(VALU_DEP_2) | instskip(NEXT) | instid1(VALU_DEP_1)
	v_cmp_eq_u32_e64 s1, 0, v24
	v_cndmask_b32_e64 v24, v40, v28, s1
; %bb.196:
	s_or_b32 exec_lo, exec_lo, s8
	v_sub_f32_e32 v21, v21, v25
	s_delay_alu instid0(VALU_DEP_1) | instskip(NEXT) | instid1(VALU_DEP_1)
	v_mul_f32_e32 v25, s13, v21
	v_and_b32_e32 v21, 0x7f800000, v25
	s_delay_alu instid0(VALU_DEP_1) | instskip(NEXT) | instid1(VALU_DEP_1)
	v_cmp_ne_u32_e64 s1, 0x7f800000, v21
                                        ; implicit-def: $vgpr21
	s_and_saveexec_b32 s8, s1
	s_delay_alu instid0(SALU_CYCLE_1)
	s_xor_b32 s1, exec_lo, s8
; %bb.197:
	v_bfe_u32 v21, v25, 16, 1
	s_delay_alu instid0(VALU_DEP_1)
	v_add3_u32 v21, v25, v21, 0x7fff
                                        ; implicit-def: $vgpr25
; %bb.198:
	s_and_not1_saveexec_b32 s8, s1
; %bb.199:
	v_and_b32_e32 v21, 0xffff, v25
	v_or_b32_e32 v28, 0x10000, v25
	s_delay_alu instid0(VALU_DEP_2) | instskip(NEXT) | instid1(VALU_DEP_1)
	v_cmp_eq_u32_e64 s1, 0, v21
	v_cndmask_b32_e64 v21, v28, v25, s1
; %bb.200:
	s_or_b32 exec_lo, exec_lo, s8
	v_sub_f32_e32 v25, v26, v29
	s_delay_alu instid0(VALU_DEP_1) | instskip(NEXT) | instid1(VALU_DEP_1)
	v_mul_f32_e32 v26, s13, v25
	v_and_b32_e32 v25, 0x7f800000, v26
	s_delay_alu instid0(VALU_DEP_1) | instskip(NEXT) | instid1(VALU_DEP_1)
	v_cmp_ne_u32_e64 s1, 0x7f800000, v25
                                        ; implicit-def: $vgpr25
	s_and_saveexec_b32 s8, s1
	s_delay_alu instid0(SALU_CYCLE_1)
	s_xor_b32 s1, exec_lo, s8
; %bb.201:
	v_bfe_u32 v25, v26, 16, 1
	s_delay_alu instid0(VALU_DEP_1)
	v_add3_u32 v25, v26, v25, 0x7fff
                                        ; implicit-def: $vgpr26
; %bb.202:
	s_and_not1_saveexec_b32 s8, s1
; %bb.203:
	v_and_b32_e32 v25, 0xffff, v26
	v_or_b32_e32 v28, 0x10000, v26
	s_delay_alu instid0(VALU_DEP_2) | instskip(NEXT) | instid1(VALU_DEP_1)
	v_cmp_eq_u32_e64 s1, 0, v25
	v_cndmask_b32_e64 v25, v28, v26, s1
; %bb.204:
	s_or_b32 exec_lo, exec_lo, s8
	v_sub_f32_e32 v23, v23, v27
	s_delay_alu instid0(VALU_DEP_1) | instskip(NEXT) | instid1(VALU_DEP_1)
	v_mul_f32_e32 v26, s13, v23
	v_and_b32_e32 v23, 0x7f800000, v26
	s_delay_alu instid0(VALU_DEP_1) | instskip(NEXT) | instid1(VALU_DEP_1)
	v_cmp_ne_u32_e64 s1, 0x7f800000, v23
                                        ; implicit-def: $vgpr23
	s_and_saveexec_b32 s8, s1
	s_delay_alu instid0(SALU_CYCLE_1)
	s_xor_b32 s1, exec_lo, s8
; %bb.205:
	v_bfe_u32 v23, v26, 16, 1
	s_delay_alu instid0(VALU_DEP_1)
	v_add3_u32 v23, v26, v23, 0x7fff
                                        ; implicit-def: $vgpr26
; %bb.206:
	s_and_not1_saveexec_b32 s8, s1
; %bb.207:
	v_and_b32_e32 v23, 0xffff, v26
	v_or_b32_e32 v27, 0x10000, v26
	s_delay_alu instid0(VALU_DEP_2) | instskip(NEXT) | instid1(VALU_DEP_1)
	v_cmp_eq_u32_e64 s1, 0, v23
	v_cndmask_b32_e64 v23, v27, v26, s1
; %bb.208:
	s_or_b32 exec_lo, exec_lo, s8
	v_sub_f32_e32 v26, v30, v31
	s_delay_alu instid0(VALU_DEP_1) | instskip(NEXT) | instid1(VALU_DEP_1)
	v_mul_f32_e32 v27, s13, v26
	v_and_b32_e32 v26, 0x7f800000, v27
	s_delay_alu instid0(VALU_DEP_1) | instskip(NEXT) | instid1(VALU_DEP_1)
	v_cmp_ne_u32_e64 s1, 0x7f800000, v26
                                        ; implicit-def: $vgpr26
	s_and_saveexec_b32 s8, s1
	s_delay_alu instid0(SALU_CYCLE_1)
	s_xor_b32 s1, exec_lo, s8
; %bb.209:
	v_bfe_u32 v26, v27, 16, 1
	s_delay_alu instid0(VALU_DEP_1)
	v_add3_u32 v26, v27, v26, 0x7fff
                                        ; implicit-def: $vgpr27
; %bb.210:
	s_and_not1_saveexec_b32 s8, s1
; %bb.211:
	v_and_b32_e32 v26, 0xffff, v27
	v_or_b32_e32 v28, 0x10000, v27
	s_delay_alu instid0(VALU_DEP_2) | instskip(NEXT) | instid1(VALU_DEP_1)
	v_cmp_eq_u32_e64 s1, 0, v26
	v_cndmask_b32_e64 v26, v28, v27, s1
; %bb.212:
	s_or_b32 exec_lo, exec_lo, s8
	v_sub_f32_e32 v27, v44, v45
	s_delay_alu instid0(VALU_DEP_1) | instskip(NEXT) | instid1(VALU_DEP_1)
	v_mul_f32_e32 v28, s13, v27
	v_and_b32_e32 v27, 0x7f800000, v28
	s_delay_alu instid0(VALU_DEP_1) | instskip(NEXT) | instid1(VALU_DEP_1)
	v_cmp_ne_u32_e64 s1, 0x7f800000, v27
                                        ; implicit-def: $vgpr27
	s_and_saveexec_b32 s8, s1
	s_delay_alu instid0(SALU_CYCLE_1)
	s_xor_b32 s1, exec_lo, s8
; %bb.213:
	v_bfe_u32 v27, v28, 16, 1
	s_delay_alu instid0(VALU_DEP_1)
	v_add3_u32 v27, v28, v27, 0x7fff
                                        ; implicit-def: $vgpr28
; %bb.214:
	s_and_not1_saveexec_b32 s8, s1
; %bb.215:
	v_and_b32_e32 v27, 0xffff, v28
	v_or_b32_e32 v29, 0x10000, v28
	s_delay_alu instid0(VALU_DEP_2) | instskip(NEXT) | instid1(VALU_DEP_1)
	v_cmp_eq_u32_e64 s1, 0, v27
	v_cndmask_b32_e64 v27, v29, v28, s1
; %bb.216:
	s_or_b32 exec_lo, exec_lo, s8
	v_sub_f32_e32 v28, v46, v47
	s_delay_alu instid0(VALU_DEP_1) | instskip(NEXT) | instid1(VALU_DEP_1)
	v_mul_f32_e32 v29, s13, v28
	v_and_b32_e32 v28, 0x7f800000, v29
	s_delay_alu instid0(VALU_DEP_1) | instskip(NEXT) | instid1(VALU_DEP_1)
	v_cmp_ne_u32_e64 s1, 0x7f800000, v28
                                        ; implicit-def: $vgpr28
	s_and_saveexec_b32 s8, s1
	s_delay_alu instid0(SALU_CYCLE_1)
	s_xor_b32 s1, exec_lo, s8
; %bb.217:
	v_bfe_u32 v28, v29, 16, 1
	s_delay_alu instid0(VALU_DEP_1)
	v_add3_u32 v28, v29, v28, 0x7fff
                                        ; implicit-def: $vgpr29
; %bb.218:
	s_and_not1_saveexec_b32 s8, s1
; %bb.219:
	v_and_b32_e32 v28, 0xffff, v29
	v_or_b32_e32 v30, 0x10000, v29
	s_delay_alu instid0(VALU_DEP_2) | instskip(NEXT) | instid1(VALU_DEP_1)
	v_cmp_eq_u32_e64 s1, 0, v28
	v_cndmask_b32_e64 v28, v30, v29, s1
; %bb.220:
	s_or_b32 exec_lo, exec_lo, s8
	v_sub_f32_e32 v29, v48, v49
	s_delay_alu instid0(VALU_DEP_1) | instskip(NEXT) | instid1(VALU_DEP_1)
	v_mul_f32_e32 v30, s13, v29
	v_and_b32_e32 v29, 0x7f800000, v30
	s_delay_alu instid0(VALU_DEP_1) | instskip(NEXT) | instid1(VALU_DEP_1)
	v_cmp_ne_u32_e64 s1, 0x7f800000, v29
                                        ; implicit-def: $vgpr29
	s_and_saveexec_b32 s8, s1
	s_delay_alu instid0(SALU_CYCLE_1)
	s_xor_b32 s1, exec_lo, s8
; %bb.221:
	v_bfe_u32 v29, v30, 16, 1
	s_delay_alu instid0(VALU_DEP_1)
	v_add3_u32 v29, v30, v29, 0x7fff
                                        ; implicit-def: $vgpr30
; %bb.222:
	s_and_not1_saveexec_b32 s8, s1
; %bb.223:
	v_and_b32_e32 v29, 0xffff, v30
	v_or_b32_e32 v31, 0x10000, v30
	s_delay_alu instid0(VALU_DEP_2) | instskip(NEXT) | instid1(VALU_DEP_1)
	v_cmp_eq_u32_e64 s1, 0, v29
	v_cndmask_b32_e64 v29, v31, v30, s1
; %bb.224:
	s_or_b32 exec_lo, exec_lo, s8
	v_sub_f32_e32 v30, v50, v51
	s_delay_alu instid0(VALU_DEP_1) | instskip(NEXT) | instid1(VALU_DEP_1)
	v_mul_f32_e32 v31, s13, v30
	v_and_b32_e32 v30, 0x7f800000, v31
	s_delay_alu instid0(VALU_DEP_1) | instskip(NEXT) | instid1(VALU_DEP_1)
	v_cmp_ne_u32_e64 s1, 0x7f800000, v30
                                        ; implicit-def: $vgpr30
	s_and_saveexec_b32 s8, s1
	s_delay_alu instid0(SALU_CYCLE_1)
	s_xor_b32 s1, exec_lo, s8
; %bb.225:
	v_bfe_u32 v30, v31, 16, 1
	s_delay_alu instid0(VALU_DEP_1)
	v_add3_u32 v30, v31, v30, 0x7fff
                                        ; implicit-def: $vgpr31
; %bb.226:
	s_and_not1_saveexec_b32 s8, s1
; %bb.227:
	v_and_b32_e32 v30, 0xffff, v31
	v_or_b32_e32 v40, 0x10000, v31
	s_delay_alu instid0(VALU_DEP_2) | instskip(NEXT) | instid1(VALU_DEP_1)
	v_cmp_eq_u32_e64 s1, 0, v30
	v_cndmask_b32_e64 v30, v40, v31, s1
; %bb.228:
	s_or_b32 exec_lo, exec_lo, s8
	v_sub_f32_e32 v31, v52, v53
	s_delay_alu instid0(VALU_DEP_1) | instskip(NEXT) | instid1(VALU_DEP_1)
	v_mul_f32_e32 v40, s13, v31
	v_and_b32_e32 v31, 0x7f800000, v40
	s_delay_alu instid0(VALU_DEP_1) | instskip(NEXT) | instid1(VALU_DEP_1)
	v_cmp_ne_u32_e64 s1, 0x7f800000, v31
                                        ; implicit-def: $vgpr31
	s_and_saveexec_b32 s8, s1
	s_delay_alu instid0(SALU_CYCLE_1)
	s_xor_b32 s1, exec_lo, s8
; %bb.229:
	v_bfe_u32 v31, v40, 16, 1
	s_delay_alu instid0(VALU_DEP_1)
	v_add3_u32 v31, v40, v31, 0x7fff
                                        ; implicit-def: $vgpr40
; %bb.230:
	s_and_not1_saveexec_b32 s8, s1
; %bb.231:
	v_and_b32_e32 v31, 0xffff, v40
	v_or_b32_e32 v41, 0x10000, v40
	s_delay_alu instid0(VALU_DEP_2) | instskip(NEXT) | instid1(VALU_DEP_1)
	v_cmp_eq_u32_e64 s1, 0, v31
	v_cndmask_b32_e64 v31, v41, v40, s1
; %bb.232:
	s_or_b32 exec_lo, exec_lo, s8
	v_sub_f32_e32 v40, v54, v55
	s_delay_alu instid0(VALU_DEP_1) | instskip(NEXT) | instid1(VALU_DEP_1)
	v_mul_f32_e32 v41, s13, v40
	v_and_b32_e32 v40, 0x7f800000, v41
	s_delay_alu instid0(VALU_DEP_1) | instskip(NEXT) | instid1(VALU_DEP_1)
	v_cmp_ne_u32_e64 s1, 0x7f800000, v40
                                        ; implicit-def: $vgpr40
	s_and_saveexec_b32 s8, s1
	s_delay_alu instid0(SALU_CYCLE_1)
	s_xor_b32 s1, exec_lo, s8
; %bb.233:
	v_bfe_u32 v40, v41, 16, 1
	s_delay_alu instid0(VALU_DEP_1)
	v_add3_u32 v40, v41, v40, 0x7fff
                                        ; implicit-def: $vgpr41
; %bb.234:
	s_and_not1_saveexec_b32 s8, s1
; %bb.235:
	v_and_b32_e32 v40, 0xffff, v41
	v_or_b32_e32 v42, 0x10000, v41
	s_delay_alu instid0(VALU_DEP_2) | instskip(NEXT) | instid1(VALU_DEP_1)
	v_cmp_eq_u32_e64 s1, 0, v40
	v_cndmask_b32_e64 v40, v42, v41, s1
; %bb.236:
	s_or_b32 exec_lo, exec_lo, s8
	v_sub_f32_e32 v41, v56, v57
	s_delay_alu instid0(VALU_DEP_1) | instskip(NEXT) | instid1(VALU_DEP_1)
	v_mul_f32_e32 v42, s13, v41
	v_and_b32_e32 v41, 0x7f800000, v42
	s_delay_alu instid0(VALU_DEP_1) | instskip(NEXT) | instid1(VALU_DEP_1)
	v_cmp_ne_u32_e64 s1, 0x7f800000, v41
                                        ; implicit-def: $vgpr41
	s_and_saveexec_b32 s8, s1
	s_delay_alu instid0(SALU_CYCLE_1)
	s_xor_b32 s1, exec_lo, s8
; %bb.237:
	v_bfe_u32 v41, v42, 16, 1
	s_delay_alu instid0(VALU_DEP_1)
	v_add3_u32 v41, v42, v41, 0x7fff
                                        ; implicit-def: $vgpr42
; %bb.238:
	s_and_not1_saveexec_b32 s8, s1
; %bb.239:
	v_and_b32_e32 v41, 0xffff, v42
	v_or_b32_e32 v43, 0x10000, v42
	s_delay_alu instid0(VALU_DEP_2) | instskip(NEXT) | instid1(VALU_DEP_1)
	v_cmp_eq_u32_e64 s1, 0, v41
	v_cndmask_b32_e64 v41, v43, v42, s1
; %bb.240:
	s_or_b32 exec_lo, exec_lo, s8
	v_sub_f32_e32 v42, v58, v59
	s_delay_alu instid0(VALU_DEP_1) | instskip(NEXT) | instid1(VALU_DEP_1)
	v_mul_f32_e32 v43, s13, v42
	v_and_b32_e32 v42, 0x7f800000, v43
	s_delay_alu instid0(VALU_DEP_1) | instskip(NEXT) | instid1(VALU_DEP_1)
	v_cmp_ne_u32_e64 s1, 0x7f800000, v42
                                        ; implicit-def: $vgpr42
	s_and_saveexec_b32 s8, s1
	s_delay_alu instid0(SALU_CYCLE_1)
	s_xor_b32 s1, exec_lo, s8
; %bb.241:
	v_bfe_u32 v42, v43, 16, 1
	s_delay_alu instid0(VALU_DEP_1)
	v_add3_u32 v42, v43, v42, 0x7fff
                                        ; implicit-def: $vgpr43
; %bb.242:
	s_and_not1_saveexec_b32 s8, s1
; %bb.243:
	v_and_b32_e32 v42, 0xffff, v43
	v_or_b32_e32 v44, 0x10000, v43
	s_delay_alu instid0(VALU_DEP_2) | instskip(NEXT) | instid1(VALU_DEP_1)
	v_cmp_eq_u32_e64 s1, 0, v42
	v_cndmask_b32_e64 v42, v44, v43, s1
; %bb.244:
	s_or_b32 exec_lo, exec_lo, s8
	v_sub_f32_e32 v43, v60, v61
	s_delay_alu instid0(VALU_DEP_1) | instskip(NEXT) | instid1(VALU_DEP_1)
	v_mul_f32_e32 v44, s13, v43
	v_and_b32_e32 v43, 0x7f800000, v44
	s_delay_alu instid0(VALU_DEP_1) | instskip(NEXT) | instid1(VALU_DEP_1)
	v_cmp_ne_u32_e64 s1, 0x7f800000, v43
                                        ; implicit-def: $vgpr43
	s_and_saveexec_b32 s8, s1
	s_delay_alu instid0(SALU_CYCLE_1)
	s_xor_b32 s1, exec_lo, s8
; %bb.245:
	v_bfe_u32 v43, v44, 16, 1
	s_delay_alu instid0(VALU_DEP_1)
	v_add3_u32 v43, v44, v43, 0x7fff
                                        ; implicit-def: $vgpr44
; %bb.246:
	s_and_not1_saveexec_b32 s8, s1
; %bb.247:
	v_and_b32_e32 v43, 0xffff, v44
	v_or_b32_e32 v45, 0x10000, v44
	s_delay_alu instid0(VALU_DEP_2) | instskip(NEXT) | instid1(VALU_DEP_1)
	v_cmp_eq_u32_e64 s1, 0, v43
	v_cndmask_b32_e64 v43, v45, v44, s1
; %bb.248:
	s_or_b32 exec_lo, exec_lo, s8
	v_sub_f32_e32 v44, v62, v63
	s_delay_alu instid0(VALU_DEP_1) | instskip(NEXT) | instid1(VALU_DEP_1)
	v_mul_f32_e32 v45, s13, v44
	v_and_b32_e32 v44, 0x7f800000, v45
	s_delay_alu instid0(VALU_DEP_1) | instskip(NEXT) | instid1(VALU_DEP_1)
	v_cmp_ne_u32_e64 s1, 0x7f800000, v44
                                        ; implicit-def: $vgpr44
	s_and_saveexec_b32 s8, s1
	s_delay_alu instid0(SALU_CYCLE_1)
	s_xor_b32 s1, exec_lo, s8
; %bb.249:
	v_bfe_u32 v44, v45, 16, 1
	s_delay_alu instid0(VALU_DEP_1)
	v_add3_u32 v44, v45, v44, 0x7fff
                                        ; implicit-def: $vgpr45
; %bb.250:
	s_and_not1_saveexec_b32 s8, s1
; %bb.251:
	v_and_b32_e32 v44, 0xffff, v45
	v_or_b32_e32 v46, 0x10000, v45
	s_delay_alu instid0(VALU_DEP_2) | instskip(NEXT) | instid1(VALU_DEP_1)
	v_cmp_eq_u32_e64 s1, 0, v44
	v_cndmask_b32_e64 v44, v46, v45, s1
; %bb.252:
	s_or_b32 exec_lo, exec_lo, s8
	v_sub_f32_e32 v45, v96, v97
	s_delay_alu instid0(VALU_DEP_1) | instskip(NEXT) | instid1(VALU_DEP_1)
	v_mul_f32_e32 v46, s13, v45
	v_and_b32_e32 v45, 0x7f800000, v46
	s_delay_alu instid0(VALU_DEP_1) | instskip(NEXT) | instid1(VALU_DEP_1)
	v_cmp_ne_u32_e64 s1, 0x7f800000, v45
                                        ; implicit-def: $vgpr45
	s_and_saveexec_b32 s8, s1
	s_delay_alu instid0(SALU_CYCLE_1)
	s_xor_b32 s1, exec_lo, s8
; %bb.253:
	v_bfe_u32 v45, v46, 16, 1
	s_delay_alu instid0(VALU_DEP_1)
	v_add3_u32 v45, v46, v45, 0x7fff
                                        ; implicit-def: $vgpr46
; %bb.254:
	s_and_not1_saveexec_b32 s8, s1
; %bb.255:
	v_and_b32_e32 v45, 0xffff, v46
	v_or_b32_e32 v47, 0x10000, v46
	s_delay_alu instid0(VALU_DEP_2) | instskip(NEXT) | instid1(VALU_DEP_1)
	v_cmp_eq_u32_e64 s1, 0, v45
	v_cndmask_b32_e64 v45, v47, v46, s1
; %bb.256:
	s_or_b32 exec_lo, exec_lo, s8
	v_sub_f32_e32 v46, v98, v99
	s_delay_alu instid0(VALU_DEP_1) | instskip(NEXT) | instid1(VALU_DEP_1)
	v_mul_f32_e32 v47, s13, v46
	v_and_b32_e32 v46, 0x7f800000, v47
	s_delay_alu instid0(VALU_DEP_1) | instskip(NEXT) | instid1(VALU_DEP_1)
	v_cmp_ne_u32_e64 s1, 0x7f800000, v46
                                        ; implicit-def: $vgpr46
	s_and_saveexec_b32 s8, s1
	s_delay_alu instid0(SALU_CYCLE_1)
	s_xor_b32 s1, exec_lo, s8
; %bb.257:
	v_bfe_u32 v46, v47, 16, 1
	s_delay_alu instid0(VALU_DEP_1)
	v_add3_u32 v46, v47, v46, 0x7fff
                                        ; implicit-def: $vgpr47
; %bb.258:
	s_and_not1_saveexec_b32 s8, s1
; %bb.259:
	v_and_b32_e32 v46, 0xffff, v47
	v_or_b32_e32 v48, 0x10000, v47
	s_delay_alu instid0(VALU_DEP_2) | instskip(NEXT) | instid1(VALU_DEP_1)
	v_cmp_eq_u32_e64 s1, 0, v46
	v_cndmask_b32_e64 v46, v48, v47, s1
; %bb.260:
	s_or_b32 exec_lo, exec_lo, s8
	v_sub_f32_e32 v47, v100, v101
	s_delay_alu instid0(VALU_DEP_1) | instskip(NEXT) | instid1(VALU_DEP_1)
	v_mul_f32_e32 v48, s13, v47
	v_and_b32_e32 v47, 0x7f800000, v48
	s_delay_alu instid0(VALU_DEP_1) | instskip(NEXT) | instid1(VALU_DEP_1)
	v_cmp_ne_u32_e64 s1, 0x7f800000, v47
                                        ; implicit-def: $vgpr47
	s_and_saveexec_b32 s8, s1
	s_delay_alu instid0(SALU_CYCLE_1)
	s_xor_b32 s1, exec_lo, s8
; %bb.261:
	v_bfe_u32 v47, v48, 16, 1
	s_delay_alu instid0(VALU_DEP_1)
	v_add3_u32 v47, v48, v47, 0x7fff
                                        ; implicit-def: $vgpr48
; %bb.262:
	s_and_not1_saveexec_b32 s8, s1
; %bb.263:
	v_and_b32_e32 v47, 0xffff, v48
	v_or_b32_e32 v49, 0x10000, v48
	s_delay_alu instid0(VALU_DEP_2) | instskip(NEXT) | instid1(VALU_DEP_1)
	v_cmp_eq_u32_e64 s1, 0, v47
	v_cndmask_b32_e64 v47, v49, v48, s1
; %bb.264:
	s_or_b32 exec_lo, exec_lo, s8
	v_sub_f32_e32 v48, v102, v103
	s_delay_alu instid0(VALU_DEP_1) | instskip(NEXT) | instid1(VALU_DEP_1)
	v_mul_f32_e32 v49, s13, v48
	v_and_b32_e32 v48, 0x7f800000, v49
	s_delay_alu instid0(VALU_DEP_1) | instskip(NEXT) | instid1(VALU_DEP_1)
	v_cmp_ne_u32_e64 s1, 0x7f800000, v48
                                        ; implicit-def: $vgpr48
	s_and_saveexec_b32 s8, s1
	s_delay_alu instid0(SALU_CYCLE_1)
	s_xor_b32 s1, exec_lo, s8
; %bb.265:
	v_bfe_u32 v48, v49, 16, 1
	s_delay_alu instid0(VALU_DEP_1)
	v_add3_u32 v48, v49, v48, 0x7fff
                                        ; implicit-def: $vgpr49
; %bb.266:
	s_and_not1_saveexec_b32 s8, s1
; %bb.267:
	v_and_b32_e32 v48, 0xffff, v49
	v_or_b32_e32 v50, 0x10000, v49
	s_delay_alu instid0(VALU_DEP_2) | instskip(NEXT) | instid1(VALU_DEP_1)
	v_cmp_eq_u32_e64 s1, 0, v48
	v_cndmask_b32_e64 v48, v50, v49, s1
; %bb.268:
	s_or_b32 exec_lo, exec_lo, s8
	v_sub_f32_e32 v49, v104, v105
	s_delay_alu instid0(VALU_DEP_1) | instskip(NEXT) | instid1(VALU_DEP_1)
	v_mul_f32_e32 v50, s13, v49
	v_and_b32_e32 v49, 0x7f800000, v50
	s_delay_alu instid0(VALU_DEP_1) | instskip(NEXT) | instid1(VALU_DEP_1)
	v_cmp_ne_u32_e64 s1, 0x7f800000, v49
                                        ; implicit-def: $vgpr49
	s_and_saveexec_b32 s8, s1
	s_delay_alu instid0(SALU_CYCLE_1)
	s_xor_b32 s1, exec_lo, s8
; %bb.269:
	v_bfe_u32 v49, v50, 16, 1
	s_delay_alu instid0(VALU_DEP_1)
	v_add3_u32 v49, v50, v49, 0x7fff
                                        ; implicit-def: $vgpr50
; %bb.270:
	s_and_not1_saveexec_b32 s8, s1
; %bb.271:
	v_and_b32_e32 v49, 0xffff, v50
	v_or_b32_e32 v51, 0x10000, v50
	s_delay_alu instid0(VALU_DEP_2) | instskip(NEXT) | instid1(VALU_DEP_1)
	v_cmp_eq_u32_e64 s1, 0, v49
	v_cndmask_b32_e64 v49, v51, v50, s1
; %bb.272:
	s_or_b32 exec_lo, exec_lo, s8
	s_mul_i32 s1, s18, s12
	s_mul_hi_u32 s8, s18, s15
	s_mul_i32 s9, s19, s15
	s_add_i32 s1, s8, s1
	s_mul_i32 s8, s18, s15
	s_add_i32 s9, s1, s9
	s_delay_alu instid0(SALU_CYCLE_1) | instskip(NEXT) | instid1(SALU_CYCLE_1)
	s_lshl_b64 s[8:9], s[8:9], 1
	s_add_u32 s8, s22, s8
	s_addc_u32 s9, s23, s9
	s_and_saveexec_b32 s1, vcc_lo
	s_cbranch_execnz .LBB37_281
; %bb.273:
	s_or_b32 exec_lo, exec_lo, s1
	s_and_saveexec_b32 s1, s2
	s_cbranch_execnz .LBB37_282
.LBB37_274:
	s_or_b32 exec_lo, exec_lo, s1
	s_and_saveexec_b32 s1, s3
	s_cbranch_execnz .LBB37_283
.LBB37_275:
	s_or_b32 exec_lo, exec_lo, s1
	s_and_saveexec_b32 s1, s4
	s_cbranch_execnz .LBB37_284
.LBB37_276:
	s_or_b32 exec_lo, exec_lo, s1
	s_and_saveexec_b32 s1, s5
	s_cbranch_execnz .LBB37_285
.LBB37_277:
	s_or_b32 exec_lo, exec_lo, s1
	s_and_saveexec_b32 s1, s6
	s_cbranch_execnz .LBB37_286
.LBB37_278:
	s_or_b32 exec_lo, exec_lo, s1
	s_and_saveexec_b32 s1, s7
	s_cbranch_execnz .LBB37_287
.LBB37_279:
	s_or_b32 exec_lo, exec_lo, s1
	s_and_saveexec_b32 s1, s0
	s_cbranch_execnz .LBB37_288
.LBB37_280:
	s_nop 0
	s_sendmsg sendmsg(MSG_DEALLOC_VGPRS)
	s_endpgm
.LBB37_281:
	v_perm_b32 v53, v79, v78, 0x7060302
	v_perm_b32 v52, v77, v76, 0x7060302
	;; [unrolled: 1-line block ×4, first 2 shown]
	global_store_b128 v64, v[50:53], s[8:9]
	s_or_b32 exec_lo, exec_lo, s1
	s_and_saveexec_b32 s1, s2
	s_cbranch_execz .LBB37_274
.LBB37_282:
	v_perm_b32 v3, v3, v2, 0x7060302
	v_perm_b32 v2, v1, v0, 0x7060302
	v_perm_b32 v1, v35, v34, 0x7060302
	v_perm_b32 v0, v33, v32, 0x7060302
	global_store_b128 v65, v[0:3], s[8:9]
	s_or_b32 exec_lo, exec_lo, s1
	s_and_saveexec_b32 s1, s3
	s_cbranch_execz .LBB37_275
.LBB37_283:
	v_perm_b32 v3, v11, v10, 0x7060302
	v_perm_b32 v2, v9, v8, 0x7060302
	;; [unrolled: 1-line block ×4, first 2 shown]
	global_store_b128 v66, v[0:3], s[8:9]
	s_or_b32 exec_lo, exec_lo, s1
	s_and_saveexec_b32 s1, s4
	s_cbranch_execz .LBB37_276
.LBB37_284:
	v_perm_b32 v3, v19, v18, 0x7060302
	v_perm_b32 v2, v17, v16, 0x7060302
	;; [unrolled: 1-line block ×4, first 2 shown]
	global_store_b128 v67, v[0:3], s[8:9]
	s_or_b32 exec_lo, exec_lo, s1
	s_and_saveexec_b32 s1, s5
	s_cbranch_execz .LBB37_277
.LBB37_285:
	v_perm_b32 v3, v85, v84, 0x7060302
	v_perm_b32 v2, v83, v82, 0x7060302
	v_perm_b32 v1, v81, v80, 0x7060302
	v_perm_b32 v0, v22, v20, 0x7060302
	global_store_b128 v68, v[0:3], s[8:9]
	s_or_b32 exec_lo, exec_lo, s1
	s_and_saveexec_b32 s1, s6
	s_cbranch_execz .LBB37_278
.LBB37_286:
	v_perm_b32 v3, v23, v25, 0x7060302
	v_perm_b32 v2, v21, v24, 0x7060302
	v_perm_b32 v1, v39, v38, 0x7060302
	v_perm_b32 v0, v37, v36, 0x7060302
	global_store_b128 v69, v[0:3], s[8:9]
	s_or_b32 exec_lo, exec_lo, s1
	s_and_saveexec_b32 s1, s7
	s_cbranch_execz .LBB37_279
.LBB37_287:
	v_perm_b32 v3, v41, v40, 0x7060302
	v_perm_b32 v2, v31, v30, 0x7060302
	;; [unrolled: 1-line block ×4, first 2 shown]
	global_store_b128 v70, v[0:3], s[8:9]
	s_or_b32 exec_lo, exec_lo, s1
	s_and_saveexec_b32 s1, s0
	s_cbranch_execz .LBB37_280
.LBB37_288:
	v_perm_b32 v3, v49, v48, 0x7060302
	v_perm_b32 v2, v47, v46, 0x7060302
	;; [unrolled: 1-line block ×4, first 2 shown]
	global_store_b128 v71, v[0:3], s[8:9]
	s_nop 0
	s_sendmsg sendmsg(MSG_DEALLOC_VGPRS)
	s_endpgm
	.section	.rodata,"a",@progbits
	.p2align	6, 0x0
	.amdhsa_kernel _Z30fast_hadamard_transform_kernelI37fast_hadamard_transform_kernel_traitsILi256ELi14E14__hip_bfloat16EEv18HadamardParamsBase
		.amdhsa_group_segment_fixed_size 0
		.amdhsa_private_segment_fixed_size 0
		.amdhsa_kernarg_size 312
		.amdhsa_user_sgpr_count 15
		.amdhsa_user_sgpr_dispatch_ptr 0
		.amdhsa_user_sgpr_queue_ptr 0
		.amdhsa_user_sgpr_kernarg_segment_ptr 1
		.amdhsa_user_sgpr_dispatch_id 0
		.amdhsa_user_sgpr_private_segment_size 0
		.amdhsa_wavefront_size32 1
		.amdhsa_uses_dynamic_stack 0
		.amdhsa_enable_private_segment 0
		.amdhsa_system_sgpr_workgroup_id_x 1
		.amdhsa_system_sgpr_workgroup_id_y 0
		.amdhsa_system_sgpr_workgroup_id_z 0
		.amdhsa_system_sgpr_workgroup_info 0
		.amdhsa_system_vgpr_workitem_id 0
		.amdhsa_next_free_vgpr 152
		.amdhsa_next_free_sgpr 24
		.amdhsa_reserve_vcc 1
		.amdhsa_float_round_mode_32 0
		.amdhsa_float_round_mode_16_64 0
		.amdhsa_float_denorm_mode_32 3
		.amdhsa_float_denorm_mode_16_64 3
		.amdhsa_dx10_clamp 1
		.amdhsa_ieee_mode 1
		.amdhsa_fp16_overflow 0
		.amdhsa_workgroup_processor_mode 1
		.amdhsa_memory_ordered 1
		.amdhsa_forward_progress 0
		.amdhsa_shared_vgpr_count 0
		.amdhsa_exception_fp_ieee_invalid_op 0
		.amdhsa_exception_fp_denorm_src 0
		.amdhsa_exception_fp_ieee_div_zero 0
		.amdhsa_exception_fp_ieee_overflow 0
		.amdhsa_exception_fp_ieee_underflow 0
		.amdhsa_exception_fp_ieee_inexact 0
		.amdhsa_exception_int_div_zero 0
	.end_amdhsa_kernel
	.section	.text._Z30fast_hadamard_transform_kernelI37fast_hadamard_transform_kernel_traitsILi256ELi14E14__hip_bfloat16EEv18HadamardParamsBase,"axG",@progbits,_Z30fast_hadamard_transform_kernelI37fast_hadamard_transform_kernel_traitsILi256ELi14E14__hip_bfloat16EEv18HadamardParamsBase,comdat
.Lfunc_end37:
	.size	_Z30fast_hadamard_transform_kernelI37fast_hadamard_transform_kernel_traitsILi256ELi14E14__hip_bfloat16EEv18HadamardParamsBase, .Lfunc_end37-_Z30fast_hadamard_transform_kernelI37fast_hadamard_transform_kernel_traitsILi256ELi14E14__hip_bfloat16EEv18HadamardParamsBase
                                        ; -- End function
	.section	.AMDGPU.csdata,"",@progbits
; Kernel info:
; codeLenInByte = 22764
; NumSgprs: 26
; NumVgprs: 152
; ScratchSize: 0
; MemoryBound: 0
; FloatMode: 240
; IeeeMode: 1
; LDSByteSize: 0 bytes/workgroup (compile time only)
; SGPRBlocks: 3
; VGPRBlocks: 18
; NumSGPRsForWavesPerEU: 26
; NumVGPRsForWavesPerEU: 152
; Occupancy: 9
; WaveLimiterHint : 0
; COMPUTE_PGM_RSRC2:SCRATCH_EN: 0
; COMPUTE_PGM_RSRC2:USER_SGPR: 15
; COMPUTE_PGM_RSRC2:TRAP_HANDLER: 0
; COMPUTE_PGM_RSRC2:TGID_X_EN: 1
; COMPUTE_PGM_RSRC2:TGID_Y_EN: 0
; COMPUTE_PGM_RSRC2:TGID_Z_EN: 0
; COMPUTE_PGM_RSRC2:TIDIG_COMP_CNT: 0
	.section	.text._Z30fast_hadamard_transform_kernelI37fast_hadamard_transform_kernel_traitsILi256ELi15E14__hip_bfloat16EEv18HadamardParamsBase,"axG",@progbits,_Z30fast_hadamard_transform_kernelI37fast_hadamard_transform_kernel_traitsILi256ELi15E14__hip_bfloat16EEv18HadamardParamsBase,comdat
	.protected	_Z30fast_hadamard_transform_kernelI37fast_hadamard_transform_kernel_traitsILi256ELi15E14__hip_bfloat16EEv18HadamardParamsBase ; -- Begin function _Z30fast_hadamard_transform_kernelI37fast_hadamard_transform_kernel_traitsILi256ELi15E14__hip_bfloat16EEv18HadamardParamsBase
	.globl	_Z30fast_hadamard_transform_kernelI37fast_hadamard_transform_kernel_traitsILi256ELi15E14__hip_bfloat16EEv18HadamardParamsBase
	.p2align	8
	.type	_Z30fast_hadamard_transform_kernelI37fast_hadamard_transform_kernel_traitsILi256ELi15E14__hip_bfloat16EEv18HadamardParamsBase,@function
_Z30fast_hadamard_transform_kernelI37fast_hadamard_transform_kernel_traitsILi256ELi15E14__hip_bfloat16EEv18HadamardParamsBase: ; @_Z30fast_hadamard_transform_kernelI37fast_hadamard_transform_kernel_traitsILi256ELi15E14__hip_bfloat16EEv18HadamardParamsBase
; %bb.0:
	s_clause 0x3
	s_load_b128 s[20:23], s[0:1], 0x10
	s_load_b32 s29, s[0:1], 0x4
	s_load_b128 s[24:27], s[0:1], 0x28
	s_load_b32 s2, s[0:1], 0x44
	s_ashr_i32 s28, s15, 31
	v_dual_mov_b32 v7, 0 :: v_dual_lshlrev_b32 v6, 3, v0
	v_dual_mov_b32 v1, 0 :: v_dual_mov_b32 v2, 0
	v_dual_mov_b32 v3, 0 :: v_dual_mov_b32 v4, 0
	;; [unrolled: 1-line block ×3, first 2 shown]
	v_mov_b32_e32 v11, 0
	v_lshlrev_b32_e32 v9, 4, v0
	v_mov_b32_e32 v15, 0
	scratch_store_b32 off, v9, off offset:8 ; 4-byte Folded Spill
	s_waitcnt lgkmcnt(0)
	s_mul_hi_u32 s3, s20, s15
	s_mul_i32 s4, s20, s28
	s_mul_i32 s5, s21, s15
	s_add_i32 s3, s3, s4
	s_mul_i32 s4, s20, s15
	s_add_i32 s5, s3, s5
	v_cmp_gt_u32_e32 vcc_lo, s29, v6
	s_lshl_b64 s[4:5], s[4:5], 1
	s_delay_alu instid0(SALU_CYCLE_1)
	s_add_u32 s18, s24, s4
	s_addc_u32 s19, s25, s5
	s_and_saveexec_b32 s3, vcc_lo
	s_cbranch_execz .LBB38_2
; %bb.1:
	v_lshlrev_b32_e32 v2, 4, v0
	global_load_b128 v[11:14], v2, s[18:19]
	s_waitcnt vmcnt(0)
	v_and_b32_e32 v15, 0xffff0000, v11
	v_lshlrev_b32_e32 v11, 16, v11
	v_and_b32_e32 v8, 0xffff0000, v12
	v_lshlrev_b32_e32 v7, 16, v12
	;; [unrolled: 2-line block ×4, first 2 shown]
.LBB38_2:
	s_or_b32 exec_lo, exec_lo, s3
	s_and_b32 s20, 0xffff, s2
	v_dual_mov_b32 v10, 0 :: v_dual_mov_b32 v17, 0
	v_dual_mov_b32 v9, 0 :: v_dual_add_nc_u32 v12, s20, v0
	v_mov_b32_e32 v6, 0
	v_dual_mov_b32 v16, 0 :: v_dual_mov_b32 v21, 0
	s_delay_alu instid0(VALU_DEP_3) | instskip(SKIP_2) | instid1(VALU_DEP_3)
	v_lshlrev_b32_e32 v13, 3, v12
	v_lshlrev_b32_e32 v14, 4, v12
	v_mov_b32_e32 v22, 0
	v_cmp_gt_u32_e64 s2, s29, v13
	scratch_store_b32 off, v14, off offset:12 ; 4-byte Folded Spill
	s_and_saveexec_b32 s3, s2
	s_cbranch_execz .LBB38_4
; %bb.3:
	v_lshlrev_b32_e32 v1, 4, v12
	global_load_b128 v[17:20], v1, s[18:19]
	s_waitcnt vmcnt(0)
	v_and_b32_e32 v22, 0xffff0000, v17
	v_lshlrev_b32_e32 v21, 16, v17
	v_and_b32_e32 v17, 0xffff0000, v18
	v_lshlrev_b32_e32 v16, 16, v18
	;; [unrolled: 2-line block ×4, first 2 shown]
.LBB38_4:
	s_or_b32 exec_lo, exec_lo, s3
	v_dual_mov_b32 v13, 0 :: v_dual_add_nc_u32 v20, s20, v12
	v_mov_b32_e32 v12, 0
	v_dual_mov_b32 v14, 0 :: v_dual_mov_b32 v19, 0
	s_delay_alu instid0(VALU_DEP_3) | instskip(SKIP_2) | instid1(VALU_DEP_3)
	v_dual_mov_b32 v18, 0 :: v_dual_lshlrev_b32 v25, 3, v20
	v_dual_mov_b32 v23, 0 :: v_dual_mov_b32 v24, 0
	v_dual_mov_b32 v31, 0 :: v_dual_lshlrev_b32 v26, 4, v20
	v_cmp_gt_u32_e64 s3, s29, v25
	v_mov_b32_e32 v30, 0
	scratch_store_b32 off, v26, off offset:16 ; 4-byte Folded Spill
	s_and_saveexec_b32 s4, s3
	s_cbranch_execz .LBB38_6
; %bb.5:
	v_lshlrev_b32_e32 v13, 4, v20
	global_load_b128 v[24:27], v13, s[18:19]
	s_waitcnt vmcnt(0)
	v_and_b32_e32 v31, 0xffff0000, v24
	v_lshlrev_b32_e32 v30, 16, v24
	v_and_b32_e32 v24, 0xffff0000, v25
	v_lshlrev_b32_e32 v23, 16, v25
	v_and_b32_e32 v19, 0xffff0000, v26
	v_lshlrev_b32_e32 v18, 16, v26
	v_and_b32_e32 v14, 0xffff0000, v27
	v_lshlrev_b32_e32 v13, 16, v27
.LBB38_6:
	s_or_b32 exec_lo, exec_lo, s4
	v_dual_mov_b32 v20, 0 :: v_dual_add_nc_u32 v27, s20, v20
	v_dual_mov_b32 v25, 0 :: v_dual_mov_b32 v26, 0
	v_dual_mov_b32 v32, 0 :: v_dual_mov_b32 v37, 0
	s_delay_alu instid0(VALU_DEP_3) | instskip(SKIP_1) | instid1(VALU_DEP_2)
	v_dual_mov_b32 v33, 0 :: v_dual_lshlrev_b32 v28, 3, v27
	v_dual_mov_b32 v38, 0 :: v_dual_lshlrev_b32 v29, 4, v27
	v_cmp_gt_u32_e64 s4, s29, v28
	scratch_store_b32 off, v29, off offset:20 ; 4-byte Folded Spill
	s_and_saveexec_b32 s5, s4
	s_cbranch_execz .LBB38_8
; %bb.7:
	v_lshlrev_b32_e32 v12, 4, v27
	global_load_b128 v[33:36], v12, s[18:19]
	s_waitcnt vmcnt(0)
	v_and_b32_e32 v38, 0xffff0000, v33
	v_lshlrev_b32_e32 v37, 16, v33
	v_and_b32_e32 v33, 0xffff0000, v34
	v_lshlrev_b32_e32 v32, 16, v34
	v_and_b32_e32 v26, 0xffff0000, v35
	v_lshlrev_b32_e32 v25, 16, v35
	v_and_b32_e32 v20, 0xffff0000, v36
	v_lshlrev_b32_e32 v12, 16, v36
.LBB38_8:
	s_or_b32 exec_lo, exec_lo, s5
	v_dual_mov_b32 v27, 0 :: v_dual_add_nc_u32 v36, s20, v27
	v_mov_b32_e32 v34, 0
	v_dual_mov_b32 v28, 0 :: v_dual_mov_b32 v29, 0
	s_delay_alu instid0(VALU_DEP_3) | instskip(SKIP_2) | instid1(VALU_DEP_3)
	v_lshlrev_b32_e32 v41, 3, v36
	v_dual_mov_b32 v35, 0 :: v_dual_mov_b32 v40, 0
	v_dual_mov_b32 v39, 0 :: v_dual_lshlrev_b32 v42, 4, v36
	v_cmp_gt_u32_e64 s5, s29, v41
	v_dual_mov_b32 v46, 0 :: v_dual_mov_b32 v47, 0
	scratch_store_b32 off, v42, off offset:24 ; 4-byte Folded Spill
	s_and_saveexec_b32 s6, s5
	s_cbranch_execz .LBB38_10
; %bb.9:
	v_lshlrev_b32_e32 v28, 4, v36
	global_load_b128 v[40:43], v28, s[18:19]
	s_waitcnt vmcnt(0)
	v_and_b32_e32 v47, 0xffff0000, v40
	v_lshlrev_b32_e32 v46, 16, v40
	v_and_b32_e32 v40, 0xffff0000, v41
	v_lshlrev_b32_e32 v39, 16, v41
	v_and_b32_e32 v35, 0xffff0000, v42
	v_lshlrev_b32_e32 v34, 16, v42
	v_and_b32_e32 v29, 0xffff0000, v43
	v_lshlrev_b32_e32 v28, 16, v43
.LBB38_10:
	s_or_b32 exec_lo, exec_lo, s6
	v_dual_mov_b32 v36, 0 :: v_dual_add_nc_u32 v43, s20, v36
	v_dual_mov_b32 v41, 0 :: v_dual_mov_b32 v42, 0
	v_dual_mov_b32 v48, 0 :: v_dual_mov_b32 v53, 0
	s_delay_alu instid0(VALU_DEP_3) | instskip(SKIP_1) | instid1(VALU_DEP_2)
	v_dual_mov_b32 v49, 0 :: v_dual_lshlrev_b32 v44, 3, v43
	v_dual_mov_b32 v54, 0 :: v_dual_lshlrev_b32 v45, 4, v43
	v_cmp_gt_u32_e64 s6, s29, v44
	scratch_store_b32 off, v45, off offset:28 ; 4-byte Folded Spill
	s_and_saveexec_b32 s7, s6
	s_cbranch_execz .LBB38_12
; %bb.11:
	v_lshlrev_b32_e32 v27, 4, v43
	global_load_b128 v[49:52], v27, s[18:19]
	s_waitcnt vmcnt(0)
	v_and_b32_e32 v54, 0xffff0000, v49
	v_lshlrev_b32_e32 v53, 16, v49
	v_and_b32_e32 v49, 0xffff0000, v50
	v_lshlrev_b32_e32 v48, 16, v50
	v_and_b32_e32 v42, 0xffff0000, v51
	v_lshlrev_b32_e32 v41, 16, v51
	v_and_b32_e32 v36, 0xffff0000, v52
	v_lshlrev_b32_e32 v27, 16, v52
.LBB38_12:
	s_or_b32 exec_lo, exec_lo, s7
	v_dual_mov_b32 v43, 0 :: v_dual_add_nc_u32 v52, s20, v43
	v_mov_b32_e32 v50, 0
	v_dual_mov_b32 v44, 0 :: v_dual_mov_b32 v45, 0
	s_delay_alu instid0(VALU_DEP_3) | instskip(SKIP_2) | instid1(VALU_DEP_3)
	v_lshlrev_b32_e32 v57, 3, v52
	v_dual_mov_b32 v51, 0 :: v_dual_mov_b32 v56, 0
	v_dual_mov_b32 v55, 0 :: v_dual_lshlrev_b32 v58, 4, v52
	v_cmp_gt_u32_e64 s7, s29, v57
	v_dual_mov_b32 v62, 0 :: v_dual_mov_b32 v63, 0
	scratch_store_b32 off, v58, off offset:32 ; 4-byte Folded Spill
	s_and_saveexec_b32 s8, s7
	s_cbranch_execz .LBB38_14
; %bb.13:
	v_lshlrev_b32_e32 v44, 4, v52
	global_load_b128 v[56:59], v44, s[18:19]
	s_waitcnt vmcnt(0)
	v_and_b32_e32 v63, 0xffff0000, v56
	v_lshlrev_b32_e32 v62, 16, v56
	v_and_b32_e32 v56, 0xffff0000, v57
	v_lshlrev_b32_e32 v55, 16, v57
	v_and_b32_e32 v51, 0xffff0000, v58
	v_lshlrev_b32_e32 v50, 16, v58
	v_and_b32_e32 v45, 0xffff0000, v59
	v_lshlrev_b32_e32 v44, 16, v59
.LBB38_14:
	s_or_b32 exec_lo, exec_lo, s8
	v_dual_mov_b32 v52, 0 :: v_dual_add_nc_u32 v59, s20, v52
	v_dual_mov_b32 v57, 0 :: v_dual_mov_b32 v58, 0
	v_dual_mov_b32 v64, 0 :: v_dual_mov_b32 v69, 0
	s_delay_alu instid0(VALU_DEP_3) | instskip(SKIP_1) | instid1(VALU_DEP_2)
	v_dual_mov_b32 v65, 0 :: v_dual_lshlrev_b32 v60, 3, v59
	v_dual_mov_b32 v70, 0 :: v_dual_lshlrev_b32 v61, 4, v59
	v_cmp_gt_u32_e64 s8, s29, v60
	scratch_store_b32 off, v61, off offset:36 ; 4-byte Folded Spill
	s_and_saveexec_b32 s9, s8
	s_cbranch_execz .LBB38_16
; %bb.15:
	v_lshlrev_b32_e32 v43, 4, v59
	global_load_b128 v[65:68], v43, s[18:19]
	s_waitcnt vmcnt(0)
	v_and_b32_e32 v70, 0xffff0000, v65
	v_lshlrev_b32_e32 v69, 16, v65
	v_and_b32_e32 v65, 0xffff0000, v66
	v_lshlrev_b32_e32 v64, 16, v66
	v_and_b32_e32 v58, 0xffff0000, v67
	v_lshlrev_b32_e32 v57, 16, v67
	v_and_b32_e32 v52, 0xffff0000, v68
	v_lshlrev_b32_e32 v43, 16, v68
.LBB38_16:
	s_or_b32 exec_lo, exec_lo, s9
	v_dual_mov_b32 v59, 0 :: v_dual_add_nc_u32 v68, s20, v59
	v_mov_b32_e32 v66, 0
	v_dual_mov_b32 v60, 0 :: v_dual_mov_b32 v61, 0
	s_delay_alu instid0(VALU_DEP_3) | instskip(SKIP_2) | instid1(VALU_DEP_3)
	v_lshlrev_b32_e32 v73, 3, v68
	v_dual_mov_b32 v67, 0 :: v_dual_mov_b32 v72, 0
	v_dual_mov_b32 v71, 0 :: v_dual_lshlrev_b32 v74, 4, v68
	v_cmp_gt_u32_e64 s9, s29, v73
	v_dual_mov_b32 v78, 0 :: v_dual_mov_b32 v79, 0
	scratch_store_b32 off, v74, off offset:40 ; 4-byte Folded Spill
	s_and_saveexec_b32 s10, s9
	s_cbranch_execz .LBB38_18
; %bb.17:
	v_lshlrev_b32_e32 v60, 4, v68
	global_load_b128 v[72:75], v60, s[18:19]
	s_waitcnt vmcnt(0)
	v_and_b32_e32 v79, 0xffff0000, v72
	v_lshlrev_b32_e32 v78, 16, v72
	v_and_b32_e32 v72, 0xffff0000, v73
	v_lshlrev_b32_e32 v71, 16, v73
	v_and_b32_e32 v67, 0xffff0000, v74
	v_lshlrev_b32_e32 v66, 16, v74
	v_and_b32_e32 v61, 0xffff0000, v75
	v_lshlrev_b32_e32 v60, 16, v75
.LBB38_18:
	s_or_b32 exec_lo, exec_lo, s10
	v_dual_mov_b32 v68, 0 :: v_dual_add_nc_u32 v75, s20, v68
	v_dual_mov_b32 v73, 0 :: v_dual_mov_b32 v74, 0
	v_dual_mov_b32 v80, 0 :: v_dual_mov_b32 v85, 0
	s_delay_alu instid0(VALU_DEP_3) | instskip(SKIP_1) | instid1(VALU_DEP_2)
	v_dual_mov_b32 v81, 0 :: v_dual_lshlrev_b32 v76, 3, v75
	v_dual_mov_b32 v86, 0 :: v_dual_lshlrev_b32 v77, 4, v75
	v_cmp_gt_u32_e64 s10, s29, v76
	scratch_store_b32 off, v77, off offset:44 ; 4-byte Folded Spill
	s_and_saveexec_b32 s11, s10
	s_cbranch_execz .LBB38_20
; %bb.19:
	v_lshlrev_b32_e32 v59, 4, v75
	global_load_b128 v[81:84], v59, s[18:19]
	s_waitcnt vmcnt(0)
	v_and_b32_e32 v86, 0xffff0000, v81
	v_lshlrev_b32_e32 v85, 16, v81
	v_and_b32_e32 v81, 0xffff0000, v82
	v_lshlrev_b32_e32 v80, 16, v82
	v_and_b32_e32 v74, 0xffff0000, v83
	v_lshlrev_b32_e32 v73, 16, v83
	v_and_b32_e32 v68, 0xffff0000, v84
	v_lshlrev_b32_e32 v59, 16, v84
.LBB38_20:
	s_or_b32 exec_lo, exec_lo, s11
	v_dual_mov_b32 v75, 0 :: v_dual_add_nc_u32 v84, s20, v75
	v_mov_b32_e32 v82, 0
	v_dual_mov_b32 v76, 0 :: v_dual_mov_b32 v77, 0
	s_delay_alu instid0(VALU_DEP_3) | instskip(SKIP_2) | instid1(VALU_DEP_3)
	v_lshlrev_b32_e32 v89, 3, v84
	v_dual_mov_b32 v83, 0 :: v_dual_mov_b32 v88, 0
	v_dual_mov_b32 v87, 0 :: v_dual_lshlrev_b32 v90, 4, v84
	v_cmp_gt_u32_e64 s11, s29, v89
	v_dual_mov_b32 v94, 0 :: v_dual_mov_b32 v95, 0
	scratch_store_b32 off, v90, off offset:48 ; 4-byte Folded Spill
	s_and_saveexec_b32 s12, s11
	s_cbranch_execz .LBB38_22
; %bb.21:
	v_lshlrev_b32_e32 v76, 4, v84
	global_load_b128 v[88:91], v76, s[18:19]
	s_waitcnt vmcnt(0)
	v_and_b32_e32 v95, 0xffff0000, v88
	v_lshlrev_b32_e32 v94, 16, v88
	v_and_b32_e32 v88, 0xffff0000, v89
	v_lshlrev_b32_e32 v87, 16, v89
	;; [unrolled: 2-line block ×4, first 2 shown]
.LBB38_22:
	s_or_b32 exec_lo, exec_lo, s12
	v_dual_mov_b32 v84, 0 :: v_dual_add_nc_u32 v91, s20, v84
	v_dual_mov_b32 v89, 0 :: v_dual_mov_b32 v90, 0
	s_delay_alu instid0(VALU_DEP_2) | instskip(SKIP_4) | instid1(VALU_DEP_1)
	v_dual_mov_b32 v96, 0 :: v_dual_lshlrev_b32 v93, 4, v91
	v_dual_mov_b32 v97, 0 :: v_dual_lshlrev_b32 v92, 3, v91
	v_dual_mov_b32 v100, 0 :: v_dual_mov_b32 v101, 0
	scratch_store_b32 off, v93, off offset:52 ; 4-byte Folded Spill
	v_cmp_gt_u32_e64 s12, s29, v92
	s_and_saveexec_b32 s13, s12
	s_cbranch_execz .LBB38_24
; %bb.23:
	v_lshlrev_b32_e32 v75, 4, v91
	global_load_b128 v[102:105], v75, s[18:19]
	s_waitcnt vmcnt(0)
	v_and_b32_e32 v101, 0xffff0000, v102
	v_lshlrev_b32_e32 v100, 16, v102
	v_and_b32_e32 v97, 0xffff0000, v103
	v_lshlrev_b32_e32 v96, 16, v103
	;; [unrolled: 2-line block ×4, first 2 shown]
.LBB38_24:
	s_or_b32 exec_lo, exec_lo, s13
	v_dual_mov_b32 v93, 0 :: v_dual_add_nc_u32 v102, s20, v91
	v_dual_mov_b32 v98, 0 :: v_dual_mov_b32 v91, 0
	s_delay_alu instid0(VALU_DEP_2) | instskip(SKIP_2) | instid1(VALU_DEP_3)
	v_dual_mov_b32 v92, 0 :: v_dual_lshlrev_b32 v105, 3, v102
	v_dual_mov_b32 v99, 0 :: v_dual_mov_b32 v104, 0
	v_dual_mov_b32 v103, 0 :: v_dual_lshlrev_b32 v106, 4, v102
	v_cmp_gt_u32_e64 s13, s29, v105
	v_dual_mov_b32 v107, 0 :: v_dual_mov_b32 v108, 0
	scratch_store_b32 off, v106, off offset:56 ; 4-byte Folded Spill
	s_and_saveexec_b32 s14, s13
	s_cbranch_execz .LBB38_26
; %bb.25:
	v_lshlrev_b32_e32 v91, 4, v102
	global_load_b128 v[109:112], v91, s[18:19]
	s_waitcnt vmcnt(0)
	v_and_b32_e32 v108, 0xffff0000, v109
	v_lshlrev_b32_e32 v107, 16, v109
	v_and_b32_e32 v104, 0xffff0000, v110
	v_lshlrev_b32_e32 v103, 16, v110
	;; [unrolled: 2-line block ×4, first 2 shown]
.LBB38_26:
	s_or_b32 exec_lo, exec_lo, s14
	v_dual_mov_b32 v105, 0 :: v_dual_add_nc_u32 v110, s20, v102
	v_mov_b32_e32 v102, 0
	v_dual_mov_b32 v106, 0 :: v_dual_mov_b32 v113, 0
	s_delay_alu instid0(VALU_DEP_3) | instskip(SKIP_1) | instid1(VALU_DEP_2)
	v_dual_mov_b32 v112, 0 :: v_dual_lshlrev_b32 v109, 3, v110
	v_dual_mov_b32 v117, 0 :: v_dual_mov_b32 v116, 0
	v_cmp_gt_u32_e64 s14, s29, v109
	s_delay_alu instid0(VALU_DEP_1)
	s_and_saveexec_b32 s17, s14
	s_cbranch_execz .LBB38_28
; %bb.27:
	v_mov_b32_e32 v111, 0
	s_delay_alu instid0(VALU_DEP_1) | instskip(NEXT) | instid1(VALU_DEP_1)
	v_lshlrev_b64 v[105:106], 4, v[110:111]
	v_add_co_u32 v105, s16, s18, v105
	s_delay_alu instid0(VALU_DEP_1)
	v_add_co_ci_u32_e64 v106, s16, s19, v106, s16
	global_load_b128 v[118:121], v[105:106], off
	s_waitcnt vmcnt(0)
	v_lshlrev_b32_e32 v116, 16, v118
	v_and_b32_e32 v117, 0xffff0000, v118
	v_and_b32_e32 v113, 0xffff0000, v119
	v_lshlrev_b32_e32 v112, 16, v119
	v_and_b32_e32 v106, 0xffff0000, v120
	v_lshlrev_b32_e32 v105, 16, v120
	;; [unrolled: 2-line block ×3, first 2 shown]
.LBB38_28:
	s_or_b32 exec_lo, exec_lo, s17
	v_mov_b32_e32 v109, v110
	v_dual_mov_b32 v114, 0 :: v_dual_add_nc_u32 v121, s20, v110
	v_dual_mov_b32 v111, 0 :: v_dual_mov_b32 v120, 0
	scratch_store_b64 off, v[109:110], off offset:60 ; 8-byte Folded Spill
	v_dual_mov_b32 v109, 0 :: v_dual_lshlrev_b32 v118, 3, v121
	v_dual_mov_b32 v110, 0 :: v_dual_mov_b32 v115, 0
	v_dual_mov_b32 v124, 0 :: v_dual_mov_b32 v119, 0
	v_mov_b32_e32 v123, 0
	s_delay_alu instid0(VALU_DEP_4) | instskip(NEXT) | instid1(VALU_DEP_1)
	v_cmp_gt_u32_e64 s16, s29, v118
	s_and_saveexec_b32 s21, s16
	s_cbranch_execz .LBB38_30
; %bb.29:
	v_mov_b32_e32 v122, 0
	s_delay_alu instid0(VALU_DEP_1) | instskip(NEXT) | instid1(VALU_DEP_1)
	v_lshlrev_b64 v[110:111], 4, v[121:122]
	v_add_co_u32 v110, s17, s18, v110
	s_delay_alu instid0(VALU_DEP_1)
	v_add_co_ci_u32_e64 v111, s17, s19, v111, s17
	global_load_b128 v[125:128], v[110:111], off
	s_waitcnt vmcnt(0)
	v_lshlrev_b32_e32 v123, 16, v125
	v_and_b32_e32 v124, 0xffff0000, v125
	v_and_b32_e32 v120, 0xffff0000, v126
	v_lshlrev_b32_e32 v119, 16, v126
	v_and_b32_e32 v115, 0xffff0000, v127
	v_lshlrev_b32_e32 v114, 16, v127
	;; [unrolled: 2-line block ×3, first 2 shown]
.LBB38_30:
	s_or_b32 exec_lo, exec_lo, s21
	s_load_b32 s21, s[0:1], 0x20
	v_dual_mov_b32 v118, v121 :: v_dual_add_nc_u32 v121, s20, v121
	v_dual_mov_b32 v122, 0 :: v_dual_mov_b32 v125, 0
	v_dual_mov_b32 v126, 0 :: v_dual_mov_b32 v127, 0
	scratch_store_b64 off, v[118:119], off offset:68 ; 8-byte Folded Spill
	v_dual_mov_b32 v118, v121 :: v_dual_lshlrev_b32 v121, 3, v121
	v_mov_b32_e32 v128, 0
	scratch_store_b64 off, v[118:119], off  ; 8-byte Folded Spill
	v_mov_b32_e32 v118, 0
	v_cmp_gt_u32_e64 s0, s29, v121
	v_mov_b32_e32 v121, 0
	s_delay_alu instid0(VALU_DEP_2)
	s_and_saveexec_b32 s17, s0
	s_cbranch_execz .LBB38_32
; %bb.31:
	scratch_load_b64 v[121:122], off, off   ; 8-byte Folded Reload
	s_waitcnt vmcnt(0)
	v_dual_mov_b32 v122, 0 :: v_dual_mov_b32 v109, v121
	s_delay_alu instid0(VALU_DEP_1) | instskip(SKIP_2) | instid1(VALU_DEP_1)
	v_lshlrev_b64 v[121:122], 4, v[121:122]
	scratch_store_b64 off, v[109:110], off  ; 8-byte Folded Spill
	v_add_co_u32 v121, s1, s18, v121
	v_add_co_ci_u32_e64 v122, s1, s19, v122, s1
	global_load_b128 v[129:132], v[121:122], off
	s_waitcnt vmcnt(0)
	v_and_b32_e32 v128, 0xffff0000, v129
	v_lshlrev_b32_e32 v127, 16, v129
	v_and_b32_e32 v126, 0xffff0000, v130
	v_lshlrev_b32_e32 v125, 16, v130
	;; [unrolled: 2-line block ×4, first 2 shown]
.LBB38_32:
	s_or_b32 exec_lo, exec_lo, s17
	v_add_f32_e32 v129, v11, v15
	v_sub_f32_e32 v11, v11, v15
	v_add_f32_e32 v15, v21, v22
	v_dual_sub_f32 v21, v21, v22 :: v_dual_add_f32 v22, v30, v31
	v_dual_sub_f32 v30, v30, v31 :: v_dual_add_f32 v31, v37, v38
	;; [unrolled: 1-line block ×13, first 2 shown]
	v_sub_f32_e32 v123, v123, v124
	v_add_f32_e32 v124, v127, v128
	v_sub_f32_e32 v127, v127, v128
	v_add_f32_e32 v128, v7, v8
	v_dual_sub_f32 v7, v7, v8 :: v_dual_add_f32 v8, v16, v17
	v_dual_sub_f32 v16, v16, v17 :: v_dual_add_f32 v17, v23, v24
	;; [unrolled: 1-line block ×33, first 2 shown]
	v_sub_f32_e32 v1, v1, v6
	v_add_f32_e32 v6, v13, v14
	v_dual_sub_f32 v13, v13, v14 :: v_dual_add_f32 v14, v12, v20
	v_sub_f32_e32 v12, v12, v20
	v_add_f32_e32 v20, v28, v29
	v_dual_sub_f32 v28, v28, v29 :: v_dual_add_f32 v29, v27, v36
	v_dual_sub_f32 v27, v27, v36 :: v_dual_add_f32 v36, v44, v45
	v_dual_sub_f32 v44, v44, v45 :: v_dual_add_f32 v45, v43, v52
	v_dual_sub_f32 v43, v43, v52 :: v_dual_add_f32 v52, v60, v61
	v_dual_sub_f32 v60, v60, v61 :: v_dual_add_f32 v61, v59, v68
	v_dual_sub_f32 v59, v59, v68 :: v_dual_add_f32 v68, v76, v77
	v_dual_sub_f32 v76, v76, v77 :: v_dual_add_f32 v77, v75, v84
	v_sub_f32_e32 v75, v75, v84
	v_add_f32_e32 v84, v91, v92
	v_dual_sub_f32 v91, v91, v92 :: v_dual_add_f32 v92, v93, v102
	v_dual_sub_f32 v93, v93, v102 :: v_dual_add_f32 v102, v110, v111
	v_dual_sub_f32 v110, v110, v111 :: v_dual_add_f32 v111, v109, v118
	v_dual_sub_f32 v109, v109, v118 :: v_dual_sub_f32 v130, v15, v8
	v_add_f32_e32 v118, v128, v129
	v_dual_sub_f32 v128, v129, v128 :: v_dual_add_f32 v129, v8, v15
	v_dual_add_f32 v8, v17, v22 :: v_dual_add_f32 v15, v24, v31
	v_dual_sub_f32 v22, v22, v17 :: v_dual_add_f32 v17, v33, v38
	v_dual_sub_f32 v24, v31, v24 :: v_dual_sub_f32 v33, v38, v33
	v_dual_add_f32 v31, v40, v47 :: v_dual_sub_f32 v38, v47, v40
	v_dual_add_f32 v40, v49, v54 :: v_dual_sub_f32 v47, v54, v49
	;; [unrolled: 1-line block ×6, first 2 shown]
	v_add_f32_e32 v86, v88, v95
	v_dual_sub_f32 v88, v95, v88 :: v_dual_add_f32 v95, v97, v101
	v_sub_f32_e32 v97, v101, v97
	v_add_f32_e32 v101, v104, v108
	v_sub_f32_e32 v104, v108, v104
	v_add_f32_e32 v108, v113, v117
	;; [unrolled: 2-line block ×3, first 2 shown]
	v_dual_sub_f32 v120, v124, v120 :: v_dual_sub_f32 v131, v11, v7
	v_dual_add_f32 v124, v11, v7 :: v_dual_add_f32 v7, v21, v16
	v_sub_f32_e32 v21, v21, v16
	v_dual_add_f32 v11, v30, v23 :: v_dual_add_f32 v16, v37, v32
	v_sub_f32_e32 v23, v30, v23
	v_dual_sub_f32 v37, v37, v32 :: v_dual_add_f32 v30, v46, v39
	v_dual_sub_f32 v39, v46, v39 :: v_dual_sub_f32 v46, v53, v48
	v_add_f32_e32 v32, v53, v48
	v_add_f32_e32 v48, v62, v55
	v_dual_sub_f32 v53, v62, v55 :: v_dual_sub_f32 v62, v69, v64
	v_dual_add_f32 v55, v69, v64 :: v_dual_add_f32 v64, v78, v71
	v_dual_sub_f32 v69, v78, v71 :: v_dual_sub_f32 v132, v85, v80
	v_dual_add_f32 v71, v85, v80 :: v_dual_add_f32 v80, v94, v87
	v_dual_sub_f32 v87, v94, v87 :: v_dual_sub_f32 v94, v100, v96
	v_dual_add_f32 v85, v100, v96 :: v_dual_sub_f32 v100, v107, v103
	v_dual_add_f32 v96, v107, v103 :: v_dual_add_f32 v103, v116, v112
	v_dual_sub_f32 v107, v116, v112 :: v_dual_sub_f32 v116, v123, v119
	v_add_f32_e32 v112, v123, v119
	v_dual_add_f32 v119, v127, v125 :: v_dual_add_f32 v78, v122, v126
	v_dual_sub_f32 v123, v127, v125 :: v_dual_sub_f32 v122, v126, v122
	v_dual_add_f32 v79, v3, v5 :: v_dual_sub_f32 v126, v10, v6
	v_sub_f32_e32 v125, v5, v3
	v_dual_add_f32 v3, v6, v10 :: v_dual_add_f32 v10, v29, v35
	v_dual_add_f32 v5, v14, v19 :: v_dual_add_f32 v6, v20, v26
	v_dual_sub_f32 v14, v19, v14 :: v_dual_sub_f32 v19, v26, v20
	v_sub_f32_e32 v20, v35, v29
	v_dual_add_f32 v26, v36, v42 :: v_dual_sub_f32 v29, v42, v36
	v_dual_add_f32 v35, v45, v51 :: v_dual_sub_f32 v36, v51, v45
	;; [unrolled: 1-line block ×8, first 2 shown]
	v_dual_add_f32 v92, v102, v106 :: v_dual_add_f32 v127, v9, v1
	v_dual_sub_f32 v99, v106, v102 :: v_dual_add_f32 v102, v111, v115
	v_dual_sub_f32 v106, v115, v111 :: v_dual_add_f32 v111, v4, v2
	;; [unrolled: 1-line block ×3, first 2 shown]
	v_add_f32_e32 v9, v18, v13
	v_dual_sub_f32 v28, v34, v28 :: v_dual_add_f32 v135, v41, v27
	v_sub_f32_e32 v27, v41, v27
	v_add_f32_e32 v41, v50, v44
	v_sub_f32_e32 v44, v50, v44
	v_add_f32_e32 v50, v57, v43
	;; [unrolled: 2-line block ×4, first 2 shown]
	v_dual_sub_f32 v59, v73, v59 :: v_dual_add_f32 v136, v82, v76
	v_dual_sub_f32 v137, v82, v76 :: v_dual_add_f32 v82, v89, v75
	;; [unrolled: 1-line block ×3, first 2 shown]
	v_add_f32_e32 v89, v98, v91
	v_dual_sub_f32 v91, v98, v91 :: v_dual_sub_f32 v142, v15, v5
	v_add_f32_e32 v98, v105, v93
	v_dual_sub_f32 v93, v105, v93 :: v_dual_sub_f32 v140, v8, v3
	v_dual_add_f32 v105, v114, v110 :: v_dual_sub_f32 v150, v49, v35
	v_dual_sub_f32 v115, v4, v2 :: v_dual_sub_f32 v18, v18, v13
	v_dual_add_f32 v133, v25, v12 :: v_dual_sub_f32 v110, v114, v110
	v_add_f32_e32 v114, v121, v109
	v_dual_sub_f32 v109, v121, v109 :: v_dual_sub_f32 v146, v31, v10
	v_dual_add_f32 v121, v78, v118 :: v_dual_sub_f32 v74, v65, v51
	v_dual_sub_f32 v129, v129, v79 :: v_dual_sub_f32 v148, v40, v26
	v_dual_add_f32 v139, v3, v8 :: v_dual_sub_f32 v144, v17, v6
	v_dual_add_f32 v141, v5, v15 :: v_dual_sub_f32 v152, v56, v42
	;; [unrolled: 1-line block ×3, first 2 shown]
	v_dual_add_f32 v145, v10, v31 :: v_dual_add_f32 v8, v92, v108
	v_add_f32_e32 v147, v26, v40
	v_dual_add_f32 v149, v35, v49 :: v_dual_sub_f32 v34, v86, v67
	v_dual_add_f32 v151, v42, v56 :: v_dual_sub_f32 v2, v117, v102
	;; [unrolled: 1-line block ×4, first 2 shown]
	v_dual_add_f32 v79, v67, v86 :: v_dual_add_f32 v4, v102, v117
	v_dual_add_f32 v31, v77, v95 :: v_dual_add_f32 v26, v111, v124
	v_dual_sub_f32 v17, v95, v77 :: v_dual_add_f32 v58, v133, v16
	v_dual_add_f32 v13, v83, v101 :: v_dual_sub_f32 v72, v30, v134
	v_dual_add_f32 v42, v127, v7 :: v_dual_sub_f32 v65, v16, v133
	v_dual_sub_f32 v49, v7, v127 :: v_dual_add_f32 v154, v57, v64
	v_dual_add_f32 v51, v9, v11 :: v_dual_sub_f32 v56, v11, v9
	v_dual_add_f32 v67, v134, v30 :: v_dual_sub_f32 v102, v32, v135
	v_dual_add_f32 v95, v135, v32 :: v_dual_add_f32 v134, v50, v55
	v_dual_add_f32 v111, v41, v48 :: v_dual_add_f32 v156, v66, v71
	v_sub_f32_e32 v127, v48, v41
	v_sub_f32_e32 v135, v55, v50
	v_dual_sub_f32 v155, v64, v57 :: v_dual_add_f32 v30, v98, v103
	v_sub_f32_e32 v157, v71, v66
	v_dual_sub_f32 v77, v80, v136 :: v_dual_add_f32 v50, v130, v125
	v_dual_add_f32 v11, v105, v112 :: v_dual_sub_f32 v48, v128, v122
	v_add_f32_e32 v41, v128, v122
	v_dual_sub_f32 v55, v130, v125 :: v_dual_add_f32 v164, v88, v68
	v_dual_add_f32 v57, v22, v126 :: v_dual_add_f32 v122, v47, v29
	v_sub_f32_e32 v64, v22, v126
	v_dual_sub_f32 v71, v24, v14 :: v_dual_sub_f32 v126, v47, v29
	v_dual_add_f32 v130, v54, v36 :: v_dual_add_f32 v159, v63, v45
	v_dual_sub_f32 v158, v54, v36 :: v_dual_add_f32 v163, v81, v61
	v_add_f32_e32 v29, v21, v1
	v_sub_f32_e32 v36, v21, v1
	v_mbcnt_lo_u32_b32 v1, -1, 0
	v_dual_sub_f32 v25, v25, v12 :: v_dual_sub_f32 v118, v118, v78
	v_dual_add_f32 v5, v114, v119 :: v_dual_add_f32 v66, v24, v14
	v_sub_f32_e32 v3, v119, v114
	v_dual_sub_f32 v119, v38, v20 :: v_dual_sub_f32 v160, v63, v45
	v_add_f32_e32 v45, v23, v18
	v_sub_f32_e32 v47, v23, v18
	v_xor_b32_e32 v18, 1, v1
	v_dual_add_f32 v161, v70, v52 :: v_dual_add_f32 v16, v113, v99
	v_dual_sub_f32 v162, v70, v52 :: v_dual_sub_f32 v81, v81, v61
	s_delay_alu instid0(VALU_DEP_3) | instskip(SKIP_3) | instid1(VALU_DEP_4)
	v_cmp_gt_i32_e64 s1, 32, v18
	v_add_f32_e32 v52, v37, v25
	v_dual_sub_f32 v54, v37, v25 :: v_dual_add_f32 v61, v39, v28
	v_dual_sub_f32 v15, v103, v98 :: v_dual_sub_f32 v10, v112, v105
	v_cndmask_b32_e64 v18, v1, v18, s1
	v_add_f32_e32 v98, v33, v19
	v_dual_sub_f32 v103, v33, v19 :: v_dual_add_f32 v168, v87, v137
	s_delay_alu instid0(VALU_DEP_3)
	v_dual_sub_f32 v12, v101, v83 :: v_dual_lshlrev_b32 v37, 2, v18
	v_dual_sub_f32 v83, v88, v68 :: v_dual_sub_f32 v14, v113, v99
	v_dual_sub_f32 v63, v39, v28 :: v_dual_sub_f32 v70, v46, v27
	ds_bpermute_b32 v19, v37, v121
	v_add_f32_e32 v68, v46, v27
	v_dual_sub_f32 v167, v132, v59 :: v_dual_and_b32 v18, 1, v0
	ds_bpermute_b32 v22, v37, v26
	ds_bpermute_b32 v27, v37, v118
	;; [unrolled: 1-line block ×3, first 2 shown]
	v_dual_add_f32 v114, v38, v20 :: v_dual_add_f32 v9, v120, v106
	v_add_f32_e32 v20, v131, v115
	v_cmp_eq_u32_e64 s1, 0, v18
	v_dual_sub_f32 v7, v120, v106 :: v_dual_sub_f32 v24, v131, v115
	ds_bpermute_b32 v23, v37, v41
	ds_bpermute_b32 v25, v37, v20
	v_cndmask_b32_e64 v21, -v121, v121, s1
	v_dual_add_f32 v86, v97, v84 :: v_dual_add_f32 v33, v104, v90
	v_dual_sub_f32 v88, v97, v84 :: v_dual_sub_f32 v35, v104, v90
	v_dual_add_f32 v84, v53, v44 :: v_dual_sub_f32 v115, v62, v43
	v_dual_sub_f32 v99, v53, v44 :: v_dual_add_f32 v106, v62, v43
	s_waitcnt lgkmcnt(0)
	v_dual_add_f32 v90, v116, v110 :: v_dual_add_f32 v19, v21, v19
	v_cndmask_b32_e64 v21, -v26, v26, s1
	v_cndmask_b32_e64 v26, -v41, v41, s1
	;; [unrolled: 1-line block ×4, first 2 shown]
	ds_bpermute_b32 v41, v37, v48
	ds_bpermute_b32 v43, v37, v24
	;; [unrolled: 1-line block ×5, first 2 shown]
	v_add_f32_e32 v78, v136, v80
	v_add_f32_e32 v80, v82, v85
	v_sub_f32_e32 v82, v85, v82
	v_dual_add_f32 v85, v89, v96 :: v_dual_sub_f32 v32, v96, v89
	v_dual_add_f32 v96, v21, v22 :: v_dual_add_f32 v21, v39, v27
	v_cndmask_b32_e64 v27, -v50, v50, s1
	v_add_f32_e32 v22, v40, v28
	ds_bpermute_b32 v28, v37, v29
	ds_bpermute_b32 v39, v37, v129
	;; [unrolled: 1-line block ×3, first 2 shown]
	v_cndmask_b32_e64 v20, -v20, v20, s1
	v_dual_sub_f32 v18, v123, v109 :: v_dual_add_f32 v97, v26, v23
	v_cndmask_b32_e64 v23, -v48, v48, s1
	v_cndmask_b32_e64 v24, -v24, v24, s1
	s_delay_alu instid0(VALU_DEP_4)
	v_add_f32_e32 v20, v20, v25
	v_cndmask_b32_e64 v25, -v138, v138, s1
	v_cndmask_b32_e64 v26, -v42, v42, s1
	ds_bpermute_b32 v42, v37, v55
	v_dual_sub_f32 v87, v87, v137 :: v_dual_add_f32 v170, v100, v91
	v_dual_sub_f32 v172, v100, v91 :: v_dual_sub_f32 v91, v107, v93
	ds_bpermute_b32 v48, v37, v36
	s_waitcnt lgkmcnt(8)
	v_dual_add_f32 v100, v23, v41 :: v_dual_add_f32 v101, v24, v43
	s_waitcnt lgkmcnt(7)
	v_add_f32_e32 v23, v25, v44
	s_waitcnt lgkmcnt(5)
	v_add_f32_e32 v25, v27, v53
	v_cndmask_b32_e64 v27, -v129, v129, s1
	v_add_f32_e32 v24, v26, v46
	v_cndmask_b32_e64 v26, -v29, v29, s1
	v_cndmask_b32_e64 v29, -v49, v49, s1
	ds_bpermute_b32 v43, v37, v139
	s_waitcnt lgkmcnt(4)
	v_add_f32_e32 v105, v27, v39
	ds_bpermute_b32 v46, v37, v57
	ds_bpermute_b32 v50, v37, v140
	v_cndmask_b32_e64 v41, -v55, v55, s1
	ds_bpermute_b32 v44, v37, v51
	ds_bpermute_b32 v49, v37, v45
	v_add_f32_e32 v104, v26, v28
	v_cndmask_b32_e64 v39, -v57, v57, s1
	s_waitcnt lgkmcnt(6)
	v_add_f32_e32 v27, v41, v42
	v_add_f32_e32 v26, v29, v40
	v_cndmask_b32_e64 v40, -v45, v45, s1
	ds_bpermute_b32 v45, v37, v64
	v_cndmask_b32_e64 v36, -v36, v36, s1
	v_cndmask_b32_e64 v29, -v139, v139, s1
	;; [unrolled: 1-line block ×3, first 2 shown]
	ds_bpermute_b32 v42, v37, v56
	ds_bpermute_b32 v53, v37, v58
	s_waitcnt lgkmcnt(8)
	v_add_f32_e32 v28, v36, v48
	v_cndmask_b32_e64 v36, -v51, v51, s1
	ds_bpermute_b32 v48, v37, v47
	ds_bpermute_b32 v51, v37, v141
	s_waitcnt lgkmcnt(8)
	v_dual_add_f32 v108, v29, v43 :: v_dual_add_f32 v29, v39, v46
	s_waitcnt lgkmcnt(7)
	v_add_f32_e32 v39, v41, v50
	v_cndmask_b32_e64 v41, -v64, v64, s1
	v_dual_sub_f32 v89, v116, v110 :: v_dual_add_f32 v38, v123, v109
	s_waitcnt lgkmcnt(6)
	v_add_f32_e32 v109, v36, v44
	v_cndmask_b32_e64 v43, -v47, v47, s1
	ds_bpermute_b32 v47, v37, v66
	ds_bpermute_b32 v50, v37, v142
	ds_bpermute_b32 v55, v37, v65
	s_waitcnt lgkmcnt(7)
	v_add_f32_e32 v113, v41, v45
	v_cndmask_b32_e64 v45, -v142, v142, s1
	v_add_f32_e32 v36, v40, v49
	v_cndmask_b32_e64 v40, -v56, v56, s1
	ds_bpermute_b32 v49, v37, v52
	ds_bpermute_b32 v56, v37, v71
	v_cndmask_b32_e64 v44, -v141, v141, s1
	v_cndmask_b32_e64 v46, -v58, v58, s1
	ds_bpermute_b32 v57, v37, v98
	ds_bpermute_b32 v58, v37, v61
	v_dual_add_f32 v131, v69, v60 :: v_dual_add_f32 v166, v132, v59
	s_waitcnt lgkmcnt(7)
	v_add_f32_e32 v41, v44, v51
	v_cndmask_b32_e64 v44, -v52, v52, s1
	ds_bpermute_b32 v51, v37, v54
	ds_bpermute_b32 v52, v37, v143
	v_add_f32_e32 v112, v40, v42
	v_add_f32_e32 v40, v43, v48
	;; [unrolled: 1-line block ×3, first 2 shown]
	v_cndmask_b32_e64 v43, -v66, v66, s1
	v_cndmask_b32_e64 v46, -v65, v65, s1
	;; [unrolled: 1-line block ×3, first 2 shown]
	ds_bpermute_b32 v53, v37, v67
	s_waitcnt lgkmcnt(9)
	v_dual_sub_f32 v165, v69, v60 :: v_dual_add_f32 v116, v43, v47
	s_waitcnt lgkmcnt(6)
	v_add_f32_e32 v117, v44, v49
	v_dual_add_f32 v43, v45, v50 :: v_dual_add_f32 v44, v46, v55
	s_waitcnt lgkmcnt(5)
	v_add_f32_e32 v45, v48, v56
	v_cndmask_b32_e64 v46, -v54, v54, s1
	ds_bpermute_b32 v54, v37, v144
	ds_bpermute_b32 v55, v37, v72
	;; [unrolled: 1-line block ×5, first 2 shown]
	v_cndmask_b32_e64 v47, -v143, v143, s1
	v_cndmask_b32_e64 v48, -v67, v67, s1
	v_cndmask_b32_e64 v49, -v98, v98, s1
	v_cndmask_b32_e64 v50, -v61, v61, s1
	s_waitcnt lgkmcnt(6)
	v_dual_add_f32 v120, v46, v51 :: v_dual_add_f32 v121, v47, v52
	v_cndmask_b32_e64 v51, -v103, v103, s1
	v_add_f32_e32 v47, v49, v57
	s_waitcnt lgkmcnt(5)
	v_add_f32_e32 v46, v48, v53
	v_add_f32_e32 v48, v50, v58
	v_cndmask_b32_e64 v49, -v144, v144, s1
	v_cndmask_b32_e64 v50, -v72, v72, s1
	;; [unrolled: 1-line block ×4, first 2 shown]
	ds_bpermute_b32 v57, v37, v95
	ds_bpermute_b32 v58, v37, v114
	;; [unrolled: 1-line block ×5, first 2 shown]
	s_waitcnt lgkmcnt(8)
	v_dual_add_f32 v124, v49, v54 :: v_dual_add_f32 v125, v50, v55
	s_waitcnt lgkmcnt(6)
	v_dual_add_f32 v49, v51, v56 :: v_dual_add_f32 v50, v52, v59
	s_waitcnt lgkmcnt(5)
	v_add_f32_e32 v51, v53, v60
	ds_bpermute_b32 v59, v37, v119
	ds_bpermute_b32 v60, v37, v70
	;; [unrolled: 1-line block ×5, first 2 shown]
	v_cndmask_b32_e64 v52, -v95, v95, s1
	v_cndmask_b32_e64 v53, -v114, v114, s1
	;; [unrolled: 1-line block ×5, first 2 shown]
	s_waitcnt lgkmcnt(8)
	v_dual_add_f32 v128, v52, v57 :: v_dual_add_f32 v129, v53, v58
	s_waitcnt lgkmcnt(6)
	v_dual_add_f32 v52, v54, v61 :: v_dual_add_f32 v53, v55, v62
	v_cndmask_b32_e64 v55, -v119, v119, s1
	v_cndmask_b32_e64 v57, -v147, v147, s1
	s_waitcnt lgkmcnt(5)
	v_add_f32_e32 v54, v56, v63
	v_cndmask_b32_e64 v56, -v70, v70, s1
	v_cndmask_b32_e64 v58, -v111, v111, s1
	;; [unrolled: 1-line block ×3, first 2 shown]
	ds_bpermute_b32 v62, v37, v84
	ds_bpermute_b32 v63, v37, v148
	;; [unrolled: 1-line block ×5, first 2 shown]
	s_waitcnt lgkmcnt(8)
	v_dual_add_f32 v132, v55, v59 :: v_dual_add_f32 v133, v56, v60
	s_waitcnt lgkmcnt(7)
	v_add_f32_e32 v55, v57, v64
	s_waitcnt lgkmcnt(5)
	v_add_f32_e32 v57, v61, v66
	v_cndmask_b32_e64 v59, -v148, v148, s1
	v_add_f32_e32 v56, v58, v65
	ds_bpermute_b32 v65, v37, v149
	ds_bpermute_b32 v66, v37, v134
	;; [unrolled: 1-line block ×5, first 2 shown]
	v_cndmask_b32_e64 v58, -v84, v84, s1
	v_cndmask_b32_e64 v60, -v127, v127, s1
	;; [unrolled: 1-line block ×4, first 2 shown]
	v_dual_add_f32 v169, v94, v75 :: v_dual_add_f32 v92, v107, v93
	v_sub_f32_e32 v94, v94, v75
	s_waitcnt lgkmcnt(8)
	v_dual_add_f32 v136, v58, v62 :: v_dual_add_f32 v137, v59, v63
	s_waitcnt lgkmcnt(6)
	v_add_f32_e32 v59, v61, v68
	v_cndmask_b32_e64 v61, -v149, v149, s1
	v_add_f32_e32 v58, v60, v67
	v_cndmask_b32_e64 v62, -v134, v134, s1
	v_cndmask_b32_e64 v63, -v130, v130, s1
	s_waitcnt lgkmcnt(5)
	v_add_f32_e32 v60, v64, v69
	v_cndmask_b32_e64 v64, -v106, v106, s1
	v_cndmask_b32_e64 v67, -v150, v150, s1
	ds_bpermute_b32 v68, v37, v135
	ds_bpermute_b32 v69, v37, v158
	;; [unrolled: 1-line block ×5, first 2 shown]
	s_waitcnt lgkmcnt(9)
	v_add_f32_e32 v139, v61, v65
	s_waitcnt lgkmcnt(7)
	v_add_f32_e32 v61, v63, v70
	s_waitcnt lgkmcnt(5)
	v_dual_add_f32 v140, v62, v66 :: v_dual_add_f32 v63, v67, v72
	v_cndmask_b32_e64 v65, -v158, v158, s1
	v_add_f32_e32 v62, v64, v71
	ds_bpermute_b32 v71, v37, v159
	ds_bpermute_b32 v72, v37, v131
	;; [unrolled: 1-line block ×5, first 2 shown]
	v_cndmask_b32_e64 v64, -v135, v135, s1
	v_cndmask_b32_e64 v66, -v115, v115, s1
	v_cndmask_b32_e64 v67, -v151, v151, s1
	v_cndmask_b32_e64 v70, -v154, v154, s1
	ds_bpermute_b32 v102, v37, v156
	s_waitcnt lgkmcnt(9)
	v_add_f32_e32 v143, v65, v69
	v_cndmask_b32_e64 v69, -v152, v152, s1
	v_add_f32_e32 v142, v64, v68
	s_waitcnt lgkmcnt(7)
	v_dual_add_f32 v64, v66, v75 :: v_dual_add_f32 v65, v67, v84
	v_cndmask_b32_e64 v67, -v159, v159, s1
	v_cndmask_b32_e64 v68, -v131, v131, s1
	s_waitcnt lgkmcnt(6)
	v_add_f32_e32 v66, v70, v93
	v_cndmask_b32_e64 v70, -v155, v155, s1
	v_cndmask_b32_e64 v75, -v160, v160, s1
	ds_bpermute_b32 v84, v37, v165
	s_waitcnt lgkmcnt(5)
	v_add_f32_e32 v147, v68, v72
	ds_bpermute_b32 v93, v37, v153
	ds_bpermute_b32 v103, v37, v161
	;; [unrolled: 1-line block ×3, first 2 shown]
	v_add_f32_e32 v146, v67, v71
	s_waitcnt lgkmcnt(6)
	v_dual_add_f32 v67, v69, v95 :: v_dual_add_f32 v68, v70, v98
	s_waitcnt lgkmcnt(5)
	v_add_f32_e32 v69, v75, v99
	ds_bpermute_b32 v98, v37, v74
	ds_bpermute_b32 v99, v37, v157
	;; [unrolled: 1-line block ×4, first 2 shown]
	v_cndmask_b32_e64 v70, -v165, v165, s1
	v_cndmask_b32_e64 v71, -v153, v153, s1
	;; [unrolled: 1-line block ×5, first 2 shown]
	ds_bpermute_b32 v107, v37, v162
	v_cndmask_b32_e64 v74, -v74, v74, s1
	s_waitcnt lgkmcnt(8)
	v_add_f32_e32 v150, v70, v84
	s_waitcnt lgkmcnt(7)
	v_dual_add_f32 v70, v72, v102 :: v_dual_add_f32 v151, v71, v93
	s_waitcnt lgkmcnt(6)
	v_add_f32_e32 v71, v75, v103
	v_cndmask_b32_e64 v75, -v157, v157, s1
	v_cndmask_b32_e64 v84, -v162, v162, s1
	s_waitcnt lgkmcnt(5)
	v_add_f32_e32 v72, v95, v106
	v_cndmask_b32_e64 v93, -v167, v167, s1
	v_cndmask_b32_e64 v95, -v73, v73, s1
	ds_bpermute_b32 v102, v37, v78
	ds_bpermute_b32 v103, v37, v163
	;; [unrolled: 1-line block ×5, first 2 shown]
	s_waitcnt lgkmcnt(8)
	v_dual_add_f32 v154, v74, v98 :: v_dual_add_f32 v155, v75, v99
	s_waitcnt lgkmcnt(6)
	v_dual_add_f32 v74, v93, v110 :: v_dual_add_f32 v75, v95, v111
	ds_bpermute_b32 v99, v37, v81
	ds_bpermute_b32 v111, v37, v80
	;; [unrolled: 1-line block ×3, first 2 shown]
	s_waitcnt lgkmcnt(8)
	v_add_f32_e32 v73, v84, v107
	v_cndmask_b32_e64 v78, -v78, v78, s1
	v_cndmask_b32_e64 v84, -v163, v163, s1
	;; [unrolled: 1-line block ×5, first 2 shown]
	ds_bpermute_b32 v107, v37, v87
	ds_bpermute_b32 v110, v37, v79
	s_waitcnt lgkmcnt(8)
	v_dual_add_f32 v158, v78, v102 :: v_dual_add_f32 v159, v84, v103
	v_cndmask_b32_e64 v81, -v81, v81, s1
	v_cndmask_b32_e64 v84, -v87, v87, s1
	;; [unrolled: 1-line block ×4, first 2 shown]
	s_waitcnt lgkmcnt(7)
	v_add_f32_e32 v76, v93, v106
	s_waitcnt lgkmcnt(5)
	v_dual_add_f32 v77, v95, v114 :: v_dual_add_f32 v78, v98, v115
	v_cndmask_b32_e64 v79, -v79, v79, s1
	ds_bpermute_b32 v93, v37, v169
	ds_bpermute_b32 v95, v37, v34
	;; [unrolled: 1-line block ×4, first 2 shown]
	s_waitcnt lgkmcnt(8)
	v_add_f32_e32 v162, v81, v99
	s_waitcnt lgkmcnt(6)
	v_dual_add_f32 v80, v80, v111 :: v_dual_add_f32 v81, v87, v118
	v_cndmask_b32_e64 v87, -v94, v94, s1
	ds_bpermute_b32 v94, v37, v31
	ds_bpermute_b32 v102, v37, v83
	;; [unrolled: 1-line block ×3, first 2 shown]
	s_waitcnt lgkmcnt(8)
	v_add_f32_e32 v163, v84, v107
	s_waitcnt lgkmcnt(7)
	v_add_f32_e32 v79, v79, v110
	v_cndmask_b32_e64 v84, -v169, v169, s1
	v_cndmask_b32_e64 v34, -v34, v34, s1
	;; [unrolled: 1-line block ×3, first 2 shown]
	ds_bpermute_b32 v110, v37, v17
	v_cndmask_b32_e64 v31, -v31, v31, s1
	v_cndmask_b32_e64 v83, -v83, v83, s1
	ds_bpermute_b32 v106, v37, v86
	ds_bpermute_b32 v107, v37, v170
	s_waitcnt lgkmcnt(8)
	v_dual_add_f32 v166, v84, v93 :: v_dual_add_f32 v167, v34, v95
	v_cndmask_b32_e64 v34, -v85, v85, s1
	v_cndmask_b32_e64 v85, -v86, v86, s1
	;; [unrolled: 1-line block ×3, first 2 shown]
	ds_bpermute_b32 v93, v37, v32
	ds_bpermute_b32 v95, v37, v88
	s_waitcnt lgkmcnt(7)
	v_add_f32_e32 v170, v31, v94
	v_cndmask_b32_e64 v31, -v88, v88, s1
	s_waitcnt lgkmcnt(5)
	v_add_f32_e32 v171, v34, v99
	v_add_f32_e32 v82, v82, v98
	ds_bpermute_b32 v98, v37, v172
	v_add_f32_e32 v83, v83, v102
	ds_bpermute_b32 v102, v37, v13
	v_cndmask_b32_e64 v17, -v17, v17, s1
	v_add_f32_e32 v84, v87, v103
	ds_bpermute_b32 v103, v37, v30
	ds_bpermute_b32 v34, v37, v33
	;; [unrolled: 1-line block ×3, first 2 shown]
	s_waitcnt lgkmcnt(9)
	v_add_f32_e32 v87, v17, v110
	ds_bpermute_b32 v94, v37, v12
	ds_bpermute_b32 v99, v37, v15
	v_cndmask_b32_e64 v17, -v32, v32, s1
	v_cndmask_b32_e64 v32, -v172, v172, s1
	s_waitcnt lgkmcnt(10)
	v_add_f32_e32 v85, v85, v106
	v_cndmask_b32_e64 v13, -v13, v13, s1
	v_cndmask_b32_e64 v106, -v30, v30, s1
	;; [unrolled: 1-line block ×3, first 2 shown]
	s_waitcnt lgkmcnt(8)
	v_add_f32_e32 v174, v17, v93
	v_cndmask_b32_e64 v17, -v92, v92, s1
	ds_bpermute_b32 v92, v37, v35
	s_waitcnt lgkmcnt(7)
	v_add_f32_e32 v30, v32, v98
	ds_bpermute_b32 v93, v37, v91
	ds_bpermute_b32 v98, v37, v11
	v_add_f32_e32 v175, v31, v95
	s_waitcnt lgkmcnt(7)
	v_dual_add_f32 v31, v13, v102 :: v_dual_add_f32 v32, v106, v103
	v_cndmask_b32_e64 v13, -v33, v33, s1
	ds_bpermute_b32 v95, v37, v8
	v_cndmask_b32_e64 v15, -v15, v15, s1
	ds_bpermute_b32 v102, v37, v16
	s_waitcnt lgkmcnt(7)
	v_add_f32_e32 v179, v17, v88
	s_waitcnt lgkmcnt(6)
	v_add_f32_e32 v33, v12, v94
	ds_bpermute_b32 v17, v37, v6
	ds_bpermute_b32 v94, v37, v10
	;; [unrolled: 1-line block ×3, first 2 shown]
	v_cndmask_b32_e64 v6, -v6, v6, s1
	v_add_f32_e32 v178, v13, v34
	v_cndmask_b32_e64 v13, -v91, v91, s1
	s_waitcnt lgkmcnt(8)
	v_add_f32_e32 v34, v15, v99
	ds_bpermute_b32 v15, v37, v90
	v_cndmask_b32_e64 v12, -v35, v35, s1
	v_cndmask_b32_e64 v11, -v11, v11, s1
	s_waitcnt lgkmcnt(7)
	v_add_f32_e32 v91, v13, v93
	v_cndmask_b32_e64 v8, -v8, v8, s1
	ds_bpermute_b32 v13, v37, v5
	s_waitcnt lgkmcnt(7)
	v_dual_add_f32 v182, v12, v92 :: v_dual_add_f32 v35, v11, v98
	v_cndmask_b32_e64 v12, -v16, v16, s1
	ds_bpermute_b32 v11, v37, v4
	s_waitcnt lgkmcnt(7)
	v_add_f32_e32 v92, v8, v95
	v_cndmask_b32_e64 v10, -v10, v10, s1
	v_cndmask_b32_e64 v16, -v89, v89, s1
	s_waitcnt lgkmcnt(6)
	v_add_f32_e32 v8, v12, v102
	v_cndmask_b32_e64 v12, -v90, v90, s1
	ds_bpermute_b32 v99, v37, v14
	v_cndmask_b32_e64 v4, -v4, v4, s1
	s_waitcnt lgkmcnt(5)
	v_add_f32_e32 v90, v10, v94
	s_waitcnt lgkmcnt(4)
	v_add_f32_e32 v10, v16, v103
	ds_bpermute_b32 v16, v37, v2
	v_cndmask_b32_e64 v2, -v2, v2, s1
	s_waitcnt lgkmcnt(4)
	v_add_f32_e32 v88, v12, v15
	ds_bpermute_b32 v12, v37, v9
	v_xor_b32_e32 v15, 2, v1
	v_add_f32_e32 v89, v6, v17
	v_cndmask_b32_e64 v17, -v5, v5, s1
	v_cndmask_b32_e64 v14, -v14, v14, s1
	;; [unrolled: 1-line block ×3, first 2 shown]
	v_cmp_gt_i32_e64 s17, 32, v15
	s_waitcnt lgkmcnt(3)
	v_add_f32_e32 v5, v4, v11
	ds_bpermute_b32 v98, v37, v3
	v_cndmask_b32_e64 v3, -v3, v3, s1
	v_add_f32_e32 v86, v86, v107
	v_cndmask_b32_e64 v11, v1, v15, s17
	ds_bpermute_b32 v15, v37, v18
	v_dual_add_f32 v4, v17, v13 :: v_dual_and_b32 v17, 2, v0
	s_waitcnt lgkmcnt(4)
	v_add_f32_e32 v6, v14, v99
	ds_bpermute_b32 v14, v37, v38
	v_cndmask_b32_e64 v13, -v38, v38, s1
	s_waitcnt lgkmcnt(4)
	v_add_f32_e32 v95, v2, v16
	v_cmp_eq_u32_e64 s17, 0, v17
	s_waitcnt lgkmcnt(3)
	v_add_f32_e32 v93, v9, v12
	v_cndmask_b32_e64 v2, -v7, v7, s1
	s_waitcnt lgkmcnt(0)
	s_waitcnt_vscnt null, 0x0
	s_barrier
	v_cndmask_b32_e64 v12, -v96, v96, s17
	v_lshlrev_b32_e32 v38, 2, v11
	ds_bpermute_b32 v11, v37, v7
	v_cndmask_b32_e64 v9, -v19, v19, s17
	v_add_f32_e32 v3, v3, v98
	v_cndmask_b32_e64 v7, -v18, v18, s1
	ds_bpermute_b32 v99, v38, v19
	ds_bpermute_b32 v102, v38, v96
	s_waitcnt lgkmcnt(0)
	buffer_gl0_inv
	v_dual_add_f32 v98, v9, v99 :: v_dual_add_f32 v99, v12, v102
	ds_bpermute_b32 v17, v38, v22
	ds_bpermute_b32 v103, v38, v97
	;; [unrolled: 1-line block ×3, first 2 shown]
	v_cndmask_b32_e64 v12, -v100, v100, s17
	v_add_f32_e32 v96, v2, v11
	v_cndmask_b32_e64 v11, -v22, v22, s17
	ds_bpermute_b32 v16, v38, v21
	ds_bpermute_b32 v19, v38, v101
	v_cndmask_b32_e64 v2, -v20, v20, s17
	v_cndmask_b32_e64 v9, -v21, v21, s17
	ds_bpermute_b32 v21, v38, v25
	ds_bpermute_b32 v22, v38, v104
	;; [unrolled: 1-line block ×3, first 2 shown]
	s_waitcnt lgkmcnt(7)
	v_add_f32_e32 v102, v11, v17
	v_cndmask_b32_e64 v11, -v24, v24, s17
	v_add_f32_e32 v94, v13, v14
	ds_bpermute_b32 v14, v38, v20
	v_cndmask_b32_e64 v13, -v97, v97, s17
	v_add_f32_e32 v97, v7, v15
	ds_bpermute_b32 v15, v38, v23
	ds_bpermute_b32 v20, v38, v24
	;; [unrolled: 1-line block ×3, first 2 shown]
	s_waitcnt lgkmcnt(10)
	v_add_f32_e32 v7, v13, v103
	v_cndmask_b32_e64 v13, -v101, v101, s17
	s_waitcnt lgkmcnt(8)
	v_add_f32_e32 v101, v9, v16
	v_add_f32_e32 v103, v12, v18
	v_cndmask_b32_e64 v12, -v25, v25, s17
	ds_bpermute_b32 v16, v38, v26
	s_waitcnt lgkmcnt(8)
	v_add_f32_e32 v9, v13, v19
	v_cndmask_b32_e64 v13, -v104, v104, s17
	ds_bpermute_b32 v18, v38, v28
	ds_bpermute_b32 v19, v38, v108
	;; [unrolled: 1-line block ×4, first 2 shown]
	s_waitcnt lgkmcnt(10)
	v_add_f32_e32 v107, v13, v22
	ds_bpermute_b32 v22, v38, v39
	s_waitcnt lgkmcnt(9)
	v_add_f32_e32 v100, v2, v14
	v_cndmask_b32_e64 v2, -v23, v23, s17
	v_cndmask_b32_e64 v14, -v105, v105, s17
	ds_bpermute_b32 v23, v38, v109
	s_waitcnt lgkmcnt(8)
	v_add_f32_e32 v105, v11, v20
	ds_bpermute_b32 v20, v38, v29
	v_add_f32_e32 v104, v2, v15
	v_add_f32_e32 v11, v14, v110
	v_cndmask_b32_e64 v14, -v108, v108, s17
	v_add_f32_e32 v106, v12, v21
	ds_bpermute_b32 v21, v38, v36
	v_cndmask_b32_e64 v2, -v26, v26, s17
	v_cndmask_b32_e64 v12, -v27, v27, s17
	;; [unrolled: 1-line block ×4, first 2 shown]
	s_waitcnt lgkmcnt(6)
	v_add_f32_e32 v111, v14, v19
	v_dual_add_f32 v108, v2, v16 :: v_dual_add_f32 v109, v12, v17
	v_cndmask_b32_e64 v2, -v29, v29, s17
	v_cndmask_b32_e64 v14, -v39, v39, s17
	;; [unrolled: 1-line block ×3, first 2 shown]
	ds_bpermute_b32 v17, v38, v40
	ds_bpermute_b32 v19, v38, v42
	s_waitcnt lgkmcnt(4)
	v_add_f32_e32 v12, v15, v23
	v_cndmask_b32_e64 v15, -v112, v112, s17
	v_add_f32_e32 v110, v13, v18
	v_cndmask_b32_e64 v13, -v36, v36, s17
	ds_bpermute_b32 v18, v38, v41
	ds_bpermute_b32 v23, v38, v116
	v_add_f32_e32 v115, v15, v24
	ds_bpermute_b32 v26, v38, v117
	s_waitcnt lgkmcnt(5)
	v_dual_add_f32 v112, v2, v20 :: v_dual_add_f32 v113, v13, v21
	v_add_f32_e32 v13, v16, v25
	v_cndmask_b32_e64 v16, -v116, v116, s17
	v_add_f32_e32 v114, v14, v22
	ds_bpermute_b32 v22, v38, v44
	ds_bpermute_b32 v24, v38, v45
	;; [unrolled: 1-line block ×4, first 2 shown]
	v_cndmask_b32_e64 v2, -v40, v40, s17
	v_cndmask_b32_e64 v14, -v41, v41, s17
	;; [unrolled: 1-line block ×4, first 2 shown]
	ds_bpermute_b32 v21, v38, v43
	ds_bpermute_b32 v28, v38, v125
	;; [unrolled: 1-line block ×3, first 2 shown]
	s_waitcnt lgkmcnt(9)
	v_dual_add_f32 v117, v14, v18 :: v_dual_add_f32 v118, v15, v19
	s_waitcnt lgkmcnt(8)
	v_add_f32_e32 v119, v16, v23
	v_cndmask_b32_e64 v15, -v44, v44, s17
	v_add_f32_e32 v116, v2, v17
	v_cndmask_b32_e64 v16, -v45, v45, s17
	v_cndmask_b32_e64 v17, -v120, v120, s17
	s_waitcnt lgkmcnt(7)
	v_add_f32_e32 v14, v20, v26
	v_cndmask_b32_e64 v18, -v121, v121, s17
	ds_bpermute_b32 v19, v38, v46
	ds_bpermute_b32 v20, v38, v47
	s_waitcnt lgkmcnt(6)
	v_add_f32_e32 v123, v17, v25
	ds_bpermute_b32 v23, v38, v48
	ds_bpermute_b32 v26, v38, v124
	v_dual_add_f32 v121, v15, v22 :: v_dual_add_f32 v122, v16, v24
	s_waitcnt lgkmcnt(7)
	v_add_f32_e32 v15, v18, v27
	ds_bpermute_b32 v22, v38, v49
	ds_bpermute_b32 v24, v38, v50
	ds_bpermute_b32 v25, v38, v51
	ds_bpermute_b32 v27, v38, v128
	v_cndmask_b32_e64 v2, -v43, v43, s17
	v_cndmask_b32_e64 v16, -v47, v47, s17
	;; [unrolled: 1-line block ×4, first 2 shown]
	ds_bpermute_b32 v36, v38, v133
	s_waitcnt lgkmcnt(11)
	v_add_f32_e32 v120, v2, v21
	v_cndmask_b32_e64 v2, -v46, v46, s17
	v_cndmask_b32_e64 v21, -v125, v125, s17
	ds_bpermute_b32 v39, v38, v137
	s_waitcnt lgkmcnt(8)
	v_add_f32_e32 v125, v16, v20
	v_cndmask_b32_e64 v20, -v129, v129, s17
	s_waitcnt lgkmcnt(6)
	v_dual_add_f32 v126, v17, v23 :: v_dual_add_f32 v127, v18, v26
	v_cndmask_b32_e64 v17, -v50, v50, s17
	v_add_f32_e32 v124, v2, v19
	v_cndmask_b32_e64 v2, -v49, v49, s17
	v_cndmask_b32_e64 v18, -v51, v51, s17
	;; [unrolled: 1-line block ×3, first 2 shown]
	s_waitcnt lgkmcnt(4)
	v_add_f32_e32 v129, v17, v24
	v_add_f32_e32 v16, v21, v28
	ds_bpermute_b32 v21, v38, v52
	ds_bpermute_b32 v23, v38, v53
	s_waitcnt lgkmcnt(4)
	v_add_f32_e32 v131, v19, v27
	ds_bpermute_b32 v26, v38, v54
	ds_bpermute_b32 v28, v38, v132
	v_dual_add_f32 v128, v2, v22 :: v_dual_add_f32 v17, v20, v29
	v_cndmask_b32_e64 v20, -v132, v132, s17
	v_add_f32_e32 v130, v18, v25
	ds_bpermute_b32 v24, v38, v55
	ds_bpermute_b32 v25, v38, v56
	;; [unrolled: 1-line block ×4, first 2 shown]
	v_cndmask_b32_e64 v2, -v52, v52, s17
	v_cndmask_b32_e64 v18, -v53, v53, s17
	;; [unrolled: 1-line block ×4, first 2 shown]
	ds_bpermute_b32 v40, v38, v140
	ds_bpermute_b32 v41, v38, v143
	;; [unrolled: 1-line block ×4, first 2 shown]
	s_waitcnt lgkmcnt(10)
	v_add_f32_e32 v133, v18, v23
	ds_bpermute_b32 v23, v38, v58
	s_waitcnt lgkmcnt(9)
	v_dual_add_f32 v134, v19, v26 :: v_dual_add_f32 v135, v20, v28
	v_cndmask_b32_e64 v19, -v56, v56, s17
	v_cndmask_b32_e64 v20, -v57, v57, s17
	v_add_f32_e32 v132, v2, v21
	v_cndmask_b32_e64 v2, -v55, v55, s17
	v_cndmask_b32_e64 v21, -v136, v136, s17
	ds_bpermute_b32 v26, v38, v59
	v_add_f32_e32 v18, v22, v36
	v_cndmask_b32_e64 v22, -v137, v137, s17
	ds_bpermute_b32 v28, v38, v60
	ds_bpermute_b32 v36, v38, v139
	s_waitcnt lgkmcnt(10)
	v_dual_add_f32 v57, v2, v24 :: v_dual_add_f32 v136, v19, v25
	s_waitcnt lgkmcnt(8)
	v_dual_add_f32 v137, v20, v27 :: v_dual_add_f32 v138, v21, v29
	v_add_f32_e32 v19, v22, v39
	ds_bpermute_b32 v25, v38, v61
	ds_bpermute_b32 v27, v38, v62
	;; [unrolled: 1-line block ×3, first 2 shown]
	v_cndmask_b32_e64 v2, -v58, v58, s17
	v_cndmask_b32_e64 v20, -v59, v59, s17
	;; [unrolled: 1-line block ×5, first 2 shown]
	ds_bpermute_b32 v29, v38, v63
	ds_bpermute_b32 v44, v38, v155
	s_waitcnt lgkmcnt(7)
	v_add_f32_e32 v139, v20, v26
	v_add_f32_e32 v20, v24, v40
	v_cndmask_b32_e64 v24, -v143, v143, s17
	v_add_f32_e32 v58, v2, v23
	v_cndmask_b32_e64 v2, -v61, v61, s17
	v_cndmask_b32_e64 v23, -v142, v142, s17
	s_waitcnt lgkmcnt(6)
	v_add_f32_e32 v140, v21, v28
	v_cndmask_b32_e64 v21, -v62, v62, s17
	ds_bpermute_b32 v40, v38, v146
	ds_bpermute_b32 v28, v38, v65
	;; [unrolled: 1-line block ×4, first 2 shown]
	s_waitcnt lgkmcnt(6)
	v_add_f32_e32 v145, v23, v39
	v_add_f32_e32 v143, v21, v27
	;; [unrolled: 1-line block ×3, first 2 shown]
	v_cndmask_b32_e64 v24, -v146, v146, s17
	v_add_f32_e32 v142, v2, v25
	v_cndmask_b32_e64 v25, -v147, v147, s17
	v_add_f32_e32 v141, v22, v36
	ds_bpermute_b32 v36, v38, v66
	ds_bpermute_b32 v39, v38, v69
	v_cndmask_b32_e64 v22, -v63, v63, s17
	v_cndmask_b32_e64 v23, -v66, v66, s17
	ds_bpermute_b32 v27, v38, v67
	ds_bpermute_b32 v41, v38, v150
	v_cndmask_b32_e64 v2, -v64, v64, s17
	ds_bpermute_b32 v46, v38, v163
	ds_bpermute_b32 v47, v38, v167
	s_waitcnt lgkmcnt(9)
	v_add_f32_e32 v149, v24, v40
	v_cndmask_b32_e64 v24, -v69, v69, s17
	ds_bpermute_b32 v40, v38, v72
	ds_bpermute_b32 v48, v38, v171
	;; [unrolled: 1-line block ×4, first 2 shown]
	s_waitcnt lgkmcnt(9)
	v_add_f32_e32 v148, v23, v36
	ds_bpermute_b32 v36, v38, v71
	s_waitcnt lgkmcnt(9)
	v_add_f32_e32 v152, v24, v39
	v_cndmask_b32_e64 v24, -v71, v71, s17
	v_add_f32_e32 v144, v22, v29
	v_cndmask_b32_e64 v22, -v65, v65, s17
	ds_bpermute_b32 v29, v38, v68
	ds_bpermute_b32 v39, v38, v74
	v_cndmask_b32_e64 v23, -v68, v68, s17
	v_add_f32_e32 v146, v2, v26
	v_add_f32_e32 v147, v22, v28
	ds_bpermute_b32 v28, v38, v70
	v_add_f32_e32 v22, v25, v42
	v_cndmask_b32_e64 v2, -v67, v67, s17
	v_cndmask_b32_e64 v25, -v150, v150, s17
	ds_bpermute_b32 v42, v38, v154
	v_cndmask_b32_e64 v26, -v151, v151, s17
	s_waitcnt lgkmcnt(11)
	v_dual_add_f32 v150, v2, v27 :: v_dual_add_f32 v153, v25, v41
	v_cndmask_b32_e64 v2, -v70, v70, s17
	v_cndmask_b32_e64 v25, -v72, v72, s17
	v_cndmask_b32_e64 v27, -v155, v155, s17
	ds_bpermute_b32 v41, v38, v75
	s_waitcnt lgkmcnt(5)
	v_add_f32_e32 v155, v24, v36
	ds_bpermute_b32 v36, v38, v76
	s_waitcnt lgkmcnt(5)
	v_add_f32_e32 v151, v23, v29
	v_dual_add_f32 v23, v26, v43 :: v_dual_add_f32 v156, v25, v40
	v_cndmask_b32_e64 v26, -v154, v154, s17
	v_cndmask_b32_e64 v25, -v74, v74, s17
	s_waitcnt lgkmcnt(3)
	v_add_f32_e32 v154, v2, v28
	v_cndmask_b32_e64 v28, -v159, v159, s17
	ds_bpermute_b32 v29, v38, v73
	ds_bpermute_b32 v43, v38, v158
	v_add_f32_e32 v159, v25, v39
	s_waitcnt lgkmcnt(4)
	v_add_f32_e32 v157, v26, v42
	v_add_f32_e32 v25, v28, v45
	ds_bpermute_b32 v45, v38, v166
	v_add_f32_e32 v24, v27, v44
	ds_bpermute_b32 v44, v38, v162
	ds_bpermute_b32 v42, v38, v78
	ds_bpermute_b32 v40, v38, v77
	v_cndmask_b32_e64 v2, -v73, v73, s17
	v_cndmask_b32_e64 v26, -v75, v75, s17
	;; [unrolled: 1-line block ×4, first 2 shown]
	ds_bpermute_b32 v39, v38, v79
	s_waitcnt lgkmcnt(8)
	v_add_f32_e32 v160, v26, v41
	ds_bpermute_b32 v41, v38, v80
	v_cndmask_b32_e64 v26, -v77, v77, s17
	s_waitcnt lgkmcnt(6)
	v_dual_add_f32 v158, v2, v29 :: v_dual_add_f32 v161, v27, v43
	v_cndmask_b32_e64 v27, -v78, v78, s17
	ds_bpermute_b32 v43, v38, v81
	v_cndmask_b32_e64 v29, -v163, v163, s17
	v_cndmask_b32_e64 v2, -v76, v76, s17
	s_waitcnt lgkmcnt(5)
	v_add_f32_e32 v165, v28, v44
	ds_bpermute_b32 v44, v38, v84
	s_waitcnt lgkmcnt(5)
	v_add_f32_e32 v164, v27, v42
	ds_bpermute_b32 v42, v38, v83
	s_waitcnt lgkmcnt(5)
	v_dual_add_f32 v163, v26, v40 :: v_dual_add_f32 v26, v29, v46
	v_cndmask_b32_e64 v29, -v166, v166, s17
	ds_bpermute_b32 v46, v38, v170
	v_cndmask_b32_e64 v27, -v80, v80, s17
	v_add_f32_e32 v162, v2, v36
	v_cndmask_b32_e64 v2, -v79, v79, s17
	v_cndmask_b32_e64 v28, -v81, v81, s17
	;; [unrolled: 1-line block ×3, first 2 shown]
	s_waitcnt lgkmcnt(4)
	v_add_f32_e32 v167, v27, v41
	ds_bpermute_b32 v40, v38, v82
	v_add_f32_e32 v169, v29, v45
	v_cndmask_b32_e64 v29, -v84, v84, s17
	ds_bpermute_b32 v41, v38, v85
	ds_bpermute_b32 v45, v38, v87
	s_waitcnt lgkmcnt(5)
	v_add_f32_e32 v172, v29, v44
	ds_bpermute_b32 v44, v38, v31
	v_add_f32_e32 v168, v28, v43
	v_cndmask_b32_e64 v28, -v83, v83, s17
	v_add_f32_e32 v166, v2, v39
	v_cndmask_b32_e64 v2, -v82, v82, s17
	v_add_f32_e32 v27, v36, v47
	ds_bpermute_b32 v47, v38, v174
	v_cndmask_b32_e64 v36, -v170, v170, s17
	v_cndmask_b32_e64 v39, -v171, v171, s17
	ds_bpermute_b32 v43, v38, v86
	s_waitcnt lgkmcnt(7)
	v_add_f32_e32 v171, v28, v42
	ds_bpermute_b32 v42, v38, v30
	s_waitcnt lgkmcnt(6)
	v_dual_add_f32 v170, v2, v40 :: v_dual_add_f32 v173, v36, v46
	ds_bpermute_b32 v46, v38, v32
	v_cndmask_b32_e64 v2, -v85, v85, s17
	v_cndmask_b32_e64 v29, -v86, v86, s17
	v_add_f32_e32 v28, v39, v48
	v_cndmask_b32_e64 v39, -v174, v174, s17
	v_cndmask_b32_e64 v36, -v87, v87, s17
	;; [unrolled: 1-line block ×3, first 2 shown]
	s_waitcnt lgkmcnt(6)
	v_add_f32_e32 v174, v2, v41
	v_cndmask_b32_e64 v2, -v30, v30, s17
	ds_bpermute_b32 v48, v38, v178
	v_cndmask_b32_e64 v30, -v31, v31, s17
	v_cndmask_b32_e64 v31, -v32, v32, s17
	s_waitcnt lgkmcnt(4)
	v_add_f32_e32 v177, v39, v47
	ds_bpermute_b32 v39, v38, v33
	v_cndmask_b32_e64 v32, -v178, v178, s17
	s_waitcnt lgkmcnt(4)
	v_add_f32_e32 v175, v29, v43
	s_waitcnt lgkmcnt(3)
	v_dual_add_f32 v29, v40, v49 :: v_dual_add_f32 v178, v2, v42
	v_cndmask_b32_e64 v2, -v33, v33, s17
	v_add_f32_e32 v176, v36, v45
	v_cndmask_b32_e64 v36, -v179, v179, s17
	ds_bpermute_b32 v40, v38, v34
	ds_bpermute_b32 v41, v38, v182
	ds_bpermute_b32 v43, v38, v91
	ds_bpermute_b32 v45, v38, v92
	s_waitcnt lgkmcnt(6)
	v_dual_add_f32 v179, v30, v44 :: v_dual_add_f32 v180, v31, v46
	v_cndmask_b32_e64 v31, -v34, v34, s17
	ds_bpermute_b32 v34, v38, v35
	s_waitcnt lgkmcnt(6)
	v_add_f32_e32 v181, v32, v48
	v_cndmask_b32_e64 v33, -v91, v91, s17
	v_add_f32_e32 v30, v36, v50
	ds_bpermute_b32 v36, v38, v8
	ds_bpermute_b32 v42, v38, v88
	;; [unrolled: 1-line block ×3, first 2 shown]
	s_waitcnt lgkmcnt(8)
	v_add_f32_e32 v185, v2, v39
	ds_bpermute_b32 v39, v38, v6
	v_cndmask_b32_e64 v32, -v182, v182, s17
	v_cndmask_b32_e64 v47, -v92, v92, s17
	;; [unrolled: 1-line block ×4, first 2 shown]
	ds_bpermute_b32 v46, v38, v90
	s_waitcnt lgkmcnt(8)
	v_dual_add_f32 v186, v31, v40 :: v_dual_add_f32 v187, v32, v41
	s_waitcnt lgkmcnt(7)
	v_add_f32_e32 v33, v33, v43
	s_waitcnt lgkmcnt(6)
	v_add_f32_e32 v31, v47, v45
	ds_bpermute_b32 v41, v38, v10
	ds_bpermute_b32 v43, v38, v5
	s_waitcnt lgkmcnt(7)
	v_add_f32_e32 v40, v2, v34
	v_cndmask_b32_e64 v32, -v88, v88, s17
	v_cndmask_b32_e64 v45, -v89, v89, s17
	;; [unrolled: 1-line block ×3, first 2 shown]
	s_waitcnt lgkmcnt(6)
	v_add_f32_e32 v34, v8, v36
	v_xor_b32_e32 v36, 4, v1
	s_waitcnt lgkmcnt(4)
	v_dual_add_f32 v35, v32, v42 :: v_dual_add_f32 v32, v45, v44
	v_cndmask_b32_e64 v6, -v6, v6, s17
	v_cndmask_b32_e64 v8, -v10, v10, s17
	ds_bpermute_b32 v10, v38, v4
	ds_bpermute_b32 v42, v38, v93
	;; [unrolled: 1-line block ×3, first 2 shown]
	v_cmp_gt_i32_e64 s18, 32, v36
	s_waitcnt lgkmcnt(6)
	v_add_f32_e32 v188, v6, v39
	v_cndmask_b32_e64 v47, -v90, v90, s17
	ds_bpermute_b32 v44, v38, v94
	v_cndmask_b32_e64 v4, -v4, v4, s17
	v_cndmask_b32_e64 v6, v1, v36, s18
	s_waitcnt lgkmcnt(5)
	v_dual_add_f32 v189, v8, v41 :: v_dual_add_f32 v2, v47, v46
	v_cndmask_b32_e64 v8, -v93, v93, s17
	v_cndmask_b32_e64 v46, -v95, v95, s17
	v_lshlrev_b32_e32 v39, 2, v6
	ds_bpermute_b32 v6, v38, v3
	ds_bpermute_b32 v48, v38, v97
	s_waitcnt lgkmcnt(6)
	v_add_f32_e32 v5, v5, v43
	v_cndmask_b32_e64 v43, -v94, v94, s17
	ds_bpermute_b32 v50, v39, v98
	ds_bpermute_b32 v51, v39, v99
	;; [unrolled: 1-line block ×3, first 2 shown]
	s_waitcnt lgkmcnt(8)
	v_dual_add_f32 v36, v4, v10 :: v_dual_and_b32 v49, 4, v0
	s_waitcnt lgkmcnt(7)
	v_add_f32_e32 v41, v8, v42
	v_cndmask_b32_e64 v8, -v96, v96, s17
	s_waitcnt lgkmcnt(6)
	v_add_f32_e32 v4, v46, v45
	ds_bpermute_b32 v45, v39, v7
	ds_bpermute_b32 v46, v39, v100
	;; [unrolled: 1-line block ×3, first 2 shown]
	v_cmp_eq_u32_e64 s18, 0, v49
	s_waitcnt lgkmcnt(8)
	v_add_f32_e32 v42, v43, v44
	v_cndmask_b32_e64 v3, -v3, v3, s17
	v_cndmask_b32_e64 v10, -v97, v97, s17
	ds_bpermute_b32 v49, v39, v101
	v_cndmask_b32_e64 v43, -v98, v98, s18
	v_cndmask_b32_e64 v44, -v99, v99, s18
	ds_bpermute_b32 v52, v39, v102
	s_waitcnt lgkmcnt(8)
	v_add_f32_e32 v184, v10, v48
	v_cndmask_b32_e64 v10, -v102, v102, s18
	s_waitcnt lgkmcnt(7)
	v_add_f32_e32 v43, v43, v50
	v_add_f32_e32 v182, v3, v6
	v_cndmask_b32_e64 v3, -v7, v7, s18
	v_cndmask_b32_e64 v7, -v100, v100, s18
	s_waitcnt lgkmcnt(6)
	v_add_f32_e32 v6, v44, v51
	v_cndmask_b32_e64 v48, -v103, v103, s18
	ds_bpermute_b32 v50, v39, v9
	ds_bpermute_b32 v51, v39, v104
	;; [unrolled: 1-line block ×5, first 2 shown]
	s_waitcnt lgkmcnt(9)
	v_add_f32_e32 v44, v3, v45
	s_waitcnt lgkmcnt(8)
	v_add_f32_e32 v45, v7, v46
	v_cndmask_b32_e64 v3, -v9, v9, s18
	s_waitcnt lgkmcnt(7)
	v_add_f32_e32 v7, v48, v53
	ds_bpermute_b32 v53, v39, v11
	ds_bpermute_b32 v59, v39, v108
	;; [unrolled: 1-line block ×5, first 2 shown]
	v_add_f32_e32 v183, v8, v47
	v_cndmask_b32_e64 v8, -v101, v101, s18
	ds_bpermute_b32 v63, v39, v12
	ds_bpermute_b32 v64, v39, v112
	;; [unrolled: 1-line block ×4, first 2 shown]
	s_waitcnt lgkmcnt(13)
	v_add_f32_e32 v48, v3, v50
	ds_bpermute_b32 v67, v39, v115
	v_add_f32_e32 v47, v10, v52
	v_cndmask_b32_e64 v9, -v105, v105, s18
	v_cndmask_b32_e64 v10, -v106, v106, s18
	v_add_f32_e32 v46, v8, v49
	v_cndmask_b32_e64 v8, -v104, v104, s18
	v_cndmask_b32_e64 v52, -v107, v107, s18
	ds_bpermute_b32 v69, v39, v116
	ds_bpermute_b32 v70, v39, v117
	;; [unrolled: 1-line block ×4, first 2 shown]
	s_waitcnt lgkmcnt(17)
	v_add_f32_e32 v49, v8, v51
	s_waitcnt lgkmcnt(15)
	v_add_f32_e32 v51, v10, v55
	v_cndmask_b32_e64 v3, -v11, v11, s18
	v_cndmask_b32_e64 v10, -v109, v109, s18
	;; [unrolled: 1-line block ×3, first 2 shown]
	v_add_f32_e32 v50, v9, v54
	v_cndmask_b32_e64 v9, -v108, v108, s18
	s_waitcnt lgkmcnt(14)
	v_add_f32_e32 v8, v52, v56
	v_cndmask_b32_e64 v56, -v111, v111, s18
	s_waitcnt lgkmcnt(13)
	v_add_f32_e32 v52, v3, v53
	s_waitcnt lgkmcnt(10)
	v_add_f32_e32 v55, v11, v61
	v_add_f32_e32 v53, v9, v59
	v_cndmask_b32_e64 v3, -v12, v12, s18
	s_waitcnt lgkmcnt(9)
	v_add_f32_e32 v9, v56, v62
	v_cndmask_b32_e64 v11, -v113, v113, s18
	v_cndmask_b32_e64 v12, -v114, v114, s18
	v_add_f32_e32 v54, v10, v60
	v_cndmask_b32_e64 v10, -v112, v112, s18
	v_cndmask_b32_e64 v62, -v115, v115, s18
	ds_bpermute_b32 v68, v39, v13
	s_waitcnt lgkmcnt(6)
	v_dual_add_f32 v61, v12, v66 :: v_dual_add_f32 v56, v3, v63
	v_add_f32_e32 v59, v10, v64
	v_cndmask_b32_e64 v3, -v13, v13, s18
	v_cndmask_b32_e64 v12, -v117, v117, s18
	;; [unrolled: 1-line block ×3, first 2 shown]
	v_add_f32_e32 v60, v11, v65
	v_cndmask_b32_e64 v11, -v116, v116, s18
	s_waitcnt lgkmcnt(5)
	v_add_f32_e32 v10, v62, v67
	v_cndmask_b32_e64 v66, -v119, v119, s18
	ds_bpermute_b32 v67, v39, v14
	ds_bpermute_b32 v73, v39, v120
	s_waitcnt lgkmcnt(6)
	v_add_f32_e32 v63, v11, v69
	ds_bpermute_b32 v74, v39, v121
	ds_bpermute_b32 v75, v39, v122
	;; [unrolled: 1-line block ×3, first 2 shown]
	s_waitcnt lgkmcnt(6)
	v_dual_add_f32 v64, v12, v70 :: v_dual_add_f32 v11, v66, v72
	v_add_f32_e32 v65, v13, v71
	ds_bpermute_b32 v71, v39, v15
	ds_bpermute_b32 v72, v39, v124
	;; [unrolled: 1-line block ×4, first 2 shown]
	v_cndmask_b32_e64 v12, -v120, v120, s18
	s_waitcnt lgkmcnt(9)
	v_add_f32_e32 v62, v3, v68
	v_cndmask_b32_e64 v3, -v14, v14, s18
	v_cndmask_b32_e64 v13, -v121, v121, s18
	v_cndmask_b32_e64 v14, -v122, v122, s18
	v_cndmask_b32_e64 v70, -v123, v123, s18
	ds_bpermute_b32 v77, v39, v125
	ds_bpermute_b32 v80, v39, v129
	;; [unrolled: 1-line block ×4, first 2 shown]
	s_waitcnt lgkmcnt(9)
	v_dual_add_f32 v68, v13, v74 :: v_dual_add_f32 v69, v14, v75
	v_cndmask_b32_e64 v13, -v124, v124, s18
	v_dual_add_f32 v66, v3, v67 :: v_dual_add_f32 v67, v12, v73
	v_cndmask_b32_e64 v3, -v15, v15, s18
	v_cndmask_b32_e64 v15, -v126, v126, s18
	s_waitcnt lgkmcnt(8)
	v_add_f32_e32 v12, v70, v76
	v_cndmask_b32_e64 v74, -v127, v127, s18
	ds_bpermute_b32 v75, v39, v16
	ds_bpermute_b32 v76, v39, v128
	s_waitcnt lgkmcnt(7)
	v_add_f32_e32 v73, v15, v78
	v_dual_add_f32 v70, v3, v71 :: v_dual_add_f32 v71, v13, v72
	v_cndmask_b32_e64 v15, -v129, v129, s18
	s_waitcnt lgkmcnt(6)
	v_add_f32_e32 v13, v74, v79
	ds_bpermute_b32 v79, v39, v17
	ds_bpermute_b32 v83, v39, v132
	;; [unrolled: 1-line block ×4, first 2 shown]
	v_cndmask_b32_e64 v14, -v125, v125, s18
	ds_bpermute_b32 v84, v39, v133
	ds_bpermute_b32 v87, v39, v18
	;; [unrolled: 1-line block ×3, first 2 shown]
	v_cndmask_b32_e64 v3, -v16, v16, s18
	s_waitcnt lgkmcnt(12)
	v_add_f32_e32 v72, v14, v77
	v_cndmask_b32_e64 v14, -v128, v128, s18
	v_cndmask_b32_e64 v78, -v131, v131, s18
	v_cndmask_b32_e64 v16, -v130, v130, s18
	s_waitcnt lgkmcnt(8)
	v_add_f32_e32 v74, v3, v75
	v_cndmask_b32_e64 v3, -v17, v17, s18
	s_waitcnt lgkmcnt(7)
	v_add_f32_e32 v75, v14, v76
	v_dual_add_f32 v76, v15, v80 :: v_dual_add_f32 v77, v16, v81
	v_cndmask_b32_e64 v15, -v132, v132, s18
	v_cndmask_b32_e64 v17, -v134, v134, s18
	v_add_f32_e32 v14, v78, v82
	v_cndmask_b32_e64 v82, -v135, v135, s18
	v_cndmask_b32_e64 v16, -v133, v133, s18
	ds_bpermute_b32 v88, v39, v57
	s_waitcnt lgkmcnt(5)
	v_add_f32_e32 v81, v17, v85
	ds_bpermute_b32 v90, v39, v137
	ds_bpermute_b32 v91, v39, v138
	v_add_f32_e32 v78, v3, v79
	v_add_f32_e32 v79, v15, v83
	s_waitcnt lgkmcnt(6)
	v_add_f32_e32 v15, v82, v86
	v_cndmask_b32_e64 v3, -v18, v18, s18
	v_cndmask_b32_e64 v17, -v136, v136, s18
	ds_bpermute_b32 v86, v39, v19
	ds_bpermute_b32 v94, v39, v140
	v_cndmask_b32_e64 v18, -v137, v137, s18
	s_waitcnt lgkmcnt(7)
	v_add_f32_e32 v80, v16, v84
	v_cndmask_b32_e64 v16, -v57, v57, s18
	ds_bpermute_b32 v92, v39, v58
	ds_bpermute_b32 v93, v39, v139
	s_waitcnt lgkmcnt(8)
	v_add_f32_e32 v82, v3, v87
	v_cndmask_b32_e64 v3, -v19, v19, s18
	v_cndmask_b32_e64 v19, -v140, v140, s18
	s_waitcnt lgkmcnt(7)
	v_add_f32_e32 v84, v17, v89
	v_cndmask_b32_e64 v17, -v58, v58, s18
	ds_bpermute_b32 v58, v39, v20
	ds_bpermute_b32 v95, v39, v141
	v_cndmask_b32_e64 v57, -v138, v138, s18
	ds_bpermute_b32 v97, v39, v144
	s_waitcnt lgkmcnt(9)
	v_add_f32_e32 v83, v16, v88
	s_waitcnt lgkmcnt(8)
	v_add_f32_e32 v85, v18, v90
	v_cndmask_b32_e64 v18, -v139, v139, s18
	ds_bpermute_b32 v96, v39, v143
	ds_bpermute_b32 v98, v39, v145
	s_waitcnt lgkmcnt(7)
	v_add_f32_e32 v89, v19, v94
	v_add_f32_e32 v86, v3, v86
	v_cndmask_b32_e64 v3, -v20, v20, s18
	v_cndmask_b32_e64 v20, -v144, v144, s18
	s_waitcnt lgkmcnt(6)
	v_add_f32_e32 v87, v17, v92
	v_add_f32_e32 v16, v57, v91
	ds_bpermute_b32 v91, v39, v142
	ds_bpermute_b32 v94, v39, v21
	;; [unrolled: 1-line block ×4, first 2 shown]
	v_cndmask_b32_e64 v57, -v141, v141, s18
	s_waitcnt lgkmcnt(9)
	v_add_f32_e32 v88, v18, v93
	v_cndmask_b32_e64 v18, -v142, v142, s18
	s_waitcnt lgkmcnt(8)
	v_add_f32_e32 v90, v3, v58
	ds_bpermute_b32 v58, v39, v22
	ds_bpermute_b32 v102, v39, v150
	ds_bpermute_b32 v103, v39, v151
	s_waitcnt lgkmcnt(10)
	v_add_f32_e32 v17, v57, v95
	ds_bpermute_b32 v95, v39, v146
	ds_bpermute_b32 v101, v39, v149
	;; [unrolled: 1-line block ×3, first 2 shown]
	v_cndmask_b32_e64 v19, -v143, v143, s18
	v_cndmask_b32_e64 v57, -v145, v145, s18
	s_waitcnt lgkmcnt(12)
	v_add_f32_e32 v93, v20, v97
	v_cndmask_b32_e64 v3, -v21, v21, s18
	v_cndmask_b32_e64 v20, -v147, v147, s18
	s_waitcnt lgkmcnt(9)
	v_add_f32_e32 v91, v18, v91
	v_cndmask_b32_e64 v21, -v148, v148, s18
	ds_bpermute_b32 v105, v39, v153
	ds_bpermute_b32 v108, v39, v155
	v_add_f32_e32 v18, v57, v98
	v_cndmask_b32_e64 v57, -v149, v149, s18
	v_add_f32_e32 v92, v19, v96
	s_waitcnt lgkmcnt(8)
	v_dual_add_f32 v94, v3, v94 :: v_dual_add_f32 v97, v21, v100
	v_cndmask_b32_e64 v3, -v22, v22, s18
	v_cndmask_b32_e64 v21, -v151, v151, s18
	;; [unrolled: 1-line block ×3, first 2 shown]
	v_add_f32_e32 v96, v20, v99
	v_cndmask_b32_e64 v20, -v150, v150, s18
	ds_bpermute_b32 v106, v39, v23
	ds_bpermute_b32 v107, v39, v154
	;; [unrolled: 1-line block ×4, first 2 shown]
	v_cndmask_b32_e64 v19, -v146, v146, s18
	s_waitcnt lgkmcnt(9)
	v_dual_add_f32 v99, v20, v102 :: v_dual_add_f32 v100, v21, v103
	v_cndmask_b32_e64 v21, -v154, v154, s18
	v_add_f32_e32 v98, v3, v58
	ds_bpermute_b32 v58, v39, v24
	s_waitcnt lgkmcnt(9)
	v_add_f32_e32 v95, v19, v95
	s_waitcnt lgkmcnt(8)
	v_add_f32_e32 v19, v57, v101
	v_cndmask_b32_e64 v57, -v153, v153, s18
	s_waitcnt lgkmcnt(7)
	v_add_f32_e32 v101, v22, v104
	v_cndmask_b32_e64 v22, -v155, v155, s18
	v_cndmask_b32_e64 v3, -v23, v23, s18
	;; [unrolled: 1-line block ×3, first 2 shown]
	ds_bpermute_b32 v111, v39, v158
	ds_bpermute_b32 v112, v39, v159
	;; [unrolled: 1-line block ×4, first 2 shown]
	s_waitcnt lgkmcnt(7)
	v_dual_add_f32 v103, v21, v107 :: v_dual_add_f32 v104, v22, v108
	v_cndmask_b32_e64 v22, -v158, v158, s18
	v_add_f32_e32 v20, v57, v105
	v_cndmask_b32_e64 v57, -v157, v157, s18
	v_add_f32_e32 v102, v3, v106
	s_waitcnt lgkmcnt(6)
	v_add_f32_e32 v105, v23, v109
	v_cndmask_b32_e64 v3, -v24, v24, s18
	v_cndmask_b32_e64 v23, -v159, v159, s18
	s_waitcnt lgkmcnt(5)
	v_add_f32_e32 v21, v57, v110
	ds_bpermute_b32 v110, v39, v25
	ds_bpermute_b32 v115, v39, v162
	;; [unrolled: 1-line block ×5, first 2 shown]
	s_waitcnt lgkmcnt(9)
	v_add_f32_e32 v106, v3, v58
	ds_bpermute_b32 v58, v39, v26
	v_cndmask_b32_e64 v24, -v160, v160, s18
	v_cndmask_b32_e64 v57, -v161, v161, s18
	ds_bpermute_b32 v121, v39, v168
	s_waitcnt lgkmcnt(9)
	v_dual_add_f32 v107, v22, v111 :: v_dual_add_f32 v108, v23, v112
	s_waitcnt lgkmcnt(8)
	v_add_f32_e32 v109, v24, v113
	v_cndmask_b32_e64 v3, -v25, v25, s18
	v_cndmask_b32_e64 v23, -v162, v162, s18
	s_waitcnt lgkmcnt(7)
	v_add_f32_e32 v22, v57, v114
	v_cndmask_b32_e64 v24, -v163, v163, s18
	v_cndmask_b32_e64 v57, -v165, v165, s18
	ds_bpermute_b32 v119, v39, v166
	ds_bpermute_b32 v120, v39, v167
	;; [unrolled: 1-line block ×3, first 2 shown]
	s_waitcnt lgkmcnt(8)
	v_add_f32_e32 v111, v23, v115
	ds_bpermute_b32 v124, v39, v171
	s_waitcnt lgkmcnt(7)
	v_dual_add_f32 v112, v24, v116 :: v_dual_add_f32 v23, v57, v118
	v_cndmask_b32_e64 v24, -v166, v166, s18
	v_add_f32_e32 v110, v3, v110
	v_cndmask_b32_e64 v3, -v26, v26, s18
	ds_bpermute_b32 v118, v39, v27
	ds_bpermute_b32 v123, v39, v170
	ds_bpermute_b32 v126, v39, v173
	v_cndmask_b32_e64 v25, -v164, v164, s18
	v_cndmask_b32_e64 v26, -v168, v168, s18
	s_waitcnt lgkmcnt(8)
	v_add_f32_e32 v114, v3, v58
	ds_bpermute_b32 v58, v39, v28
	v_cndmask_b32_e64 v57, -v169, v169, s18
	v_add_f32_e32 v113, v25, v117
	s_waitcnt lgkmcnt(8)
	v_add_f32_e32 v117, v26, v121
	v_cndmask_b32_e64 v25, -v167, v167, s18
	ds_bpermute_b32 v125, v39, v172
	v_cndmask_b32_e64 v26, -v171, v171, s18
	s_waitcnt lgkmcnt(8)
	v_add_f32_e32 v115, v24, v119
	v_cndmask_b32_e64 v3, -v27, v27, s18
	v_cndmask_b32_e64 v27, -v172, v172, s18
	s_waitcnt lgkmcnt(7)
	v_add_f32_e32 v116, v25, v120
	v_cndmask_b32_e64 v25, -v170, v170, s18
	ds_bpermute_b32 v127, v39, v174
	ds_bpermute_b32 v128, v39, v175
	;; [unrolled: 1-line block ×4, first 2 shown]
	s_waitcnt lgkmcnt(9)
	v_add_f32_e32 v120, v26, v124
	v_cndmask_b32_e64 v26, -v174, v174, s18
	v_add_f32_e32 v24, v57, v122
	v_cndmask_b32_e64 v57, -v173, v173, s18
	s_waitcnt lgkmcnt(7)
	v_dual_add_f32 v118, v3, v118 :: v_dual_add_f32 v119, v25, v123
	v_cndmask_b32_e64 v3, -v28, v28, s18
	ds_bpermute_b32 v131, v39, v178
	s_waitcnt lgkmcnt(7)
	v_add_f32_e32 v25, v57, v126
	ds_bpermute_b32 v126, v39, v29
	ds_bpermute_b32 v132, v39, v179
	;; [unrolled: 1-line block ×4, first 2 shown]
	v_cndmask_b32_e64 v28, -v176, v176, s18
	s_waitcnt lgkmcnt(10)
	v_add_f32_e32 v122, v3, v58
	ds_bpermute_b32 v58, v39, v30
	ds_bpermute_b32 v135, v39, v185
	;; [unrolled: 1-line block ×4, first 2 shown]
	s_waitcnt lgkmcnt(13)
	v_add_f32_e32 v121, v27, v125
	s_waitcnt lgkmcnt(10)
	v_add_f32_e32 v125, v28, v129
	v_cndmask_b32_e64 v27, -v175, v175, s18
	v_cndmask_b32_e64 v57, -v177, v177, s18
	v_add_f32_e32 v123, v26, v127
	v_cndmask_b32_e64 v3, -v29, v29, s18
	v_cndmask_b32_e64 v28, -v179, v179, s18
	;; [unrolled: 1-line block ×3, first 2 shown]
	v_add_f32_e32 v124, v27, v128
	v_cndmask_b32_e64 v27, -v178, v178, s18
	s_waitcnt lgkmcnt(9)
	v_add_f32_e32 v26, v57, v130
	v_cndmask_b32_e64 v57, -v181, v181, s18
	ds_bpermute_b32 v137, v39, v187
	ds_bpermute_b32 v139, v39, v34
	s_waitcnt lgkmcnt(8)
	v_dual_add_f32 v127, v27, v131 :: v_dual_add_f32 v128, v28, v132
	s_waitcnt lgkmcnt(6)
	v_add_f32_e32 v27, v57, v134
	v_add_f32_e32 v129, v29, v133
	v_cndmask_b32_e64 v28, -v185, v185, s18
	v_add_f32_e32 v126, v3, v126
	v_cndmask_b32_e64 v3, -v30, v30, s18
	v_cndmask_b32_e64 v29, -v186, v186, s18
	ds_bpermute_b32 v57, v39, v31
	s_waitcnt lgkmcnt(5)
	v_add_f32_e32 v131, v28, v135
	ds_bpermute_b32 v134, v39, v40
	ds_bpermute_b32 v141, v39, v32
	v_cndmask_b32_e64 v33, -v33, v33, s18
	v_cndmask_b32_e64 v30, -v187, v187, s18
	ds_bpermute_b32 v140, v39, v35
	v_add_f32_e32 v130, v3, v58
	v_cndmask_b32_e64 v3, -v31, v31, s18
	s_waitcnt lgkmcnt(7)
	v_add_f32_e32 v132, v29, v136
	ds_bpermute_b32 v29, v39, v2
	ds_bpermute_b32 v31, v39, v188
	v_cndmask_b32_e64 v34, -v34, v34, s18
	s_waitcnt lgkmcnt(8)
	v_add_f32_e32 v28, v33, v138
	ds_bpermute_b32 v33, v39, v189
	s_waitcnt lgkmcnt(8)
	v_add_f32_e32 v133, v30, v137
	v_cndmask_b32_e64 v30, -v40, v40, s18
	v_cndmask_b32_e64 v40, -v35, v35, s18
	s_waitcnt lgkmcnt(7)
	v_add_f32_e32 v35, v34, v139
	ds_bpermute_b32 v135, v39, v5
	v_cndmask_b32_e64 v32, -v32, v32, s18
	ds_bpermute_b32 v34, v39, v36
	s_waitcnt lgkmcnt(7)
	v_dual_add_f32 v57, v3, v57 :: v_dual_add_f32 v58, v30, v134
	v_cndmask_b32_e64 v2, -v2, v2, s18
	s_waitcnt lgkmcnt(6)
	v_add_f32_e32 v3, v32, v141
	v_cndmask_b32_e64 v30, -v188, v188, s18
	v_cndmask_b32_e64 v32, -v189, v189, s18
	ds_bpermute_b32 v134, v39, v41
	ds_bpermute_b32 v136, v39, v42
	v_xor_b32_e32 v137, 8, v1
	s_waitcnt lgkmcnt(5)
	v_dual_add_f32 v40, v40, v140 :: v_dual_add_f32 v167, v30, v31
	v_add_f32_e32 v166, v2, v29
	v_cndmask_b32_e64 v2, -v5, v5, s18
	v_cmp_gt_i32_e64 s19, 32, v137
	v_cndmask_b32_e64 v30, -v36, v36, s18
	v_cndmask_b32_e64 v31, -v41, v41, s18
	s_waitcnt lgkmcnt(4)
	v_add_f32_e32 v5, v32, v33
	ds_bpermute_b32 v33, v39, v182
	ds_bpermute_b32 v36, v39, v183
	;; [unrolled: 1-line block ×3, first 2 shown]
	v_cndmask_b32_e64 v29, v1, v137, s19
	s_waitcnt lgkmcnt(6)
	v_add_f32_e32 v157, v2, v135
	v_cndmask_b32_e64 v32, -v42, v42, s18
	s_waitcnt lgkmcnt(5)
	v_dual_add_f32 v163, v30, v34 :: v_dual_and_b32 v30, 8, v0
	v_lshlrev_b32_e32 v2, 2, v29
	ds_bpermute_b32 v29, v39, v4
	s_waitcnt lgkmcnt(4)
	v_dual_add_f32 v164, v31, v134 :: v_dual_add_f32 v165, v32, v136
	v_cndmask_b32_e64 v31, -v182, v182, s18
	ds_bpermute_b32 v42, v2, v43
	v_cndmask_b32_e64 v32, -v183, v183, s18
	v_cndmask_b32_e64 v34, -v184, v184, s18
	v_cmp_eq_u32_e64 s19, 0, v30
	ds_bpermute_b32 v137, v2, v44
	ds_bpermute_b32 v139, v2, v46
	;; [unrolled: 1-line block ×3, first 2 shown]
	s_waitcnt lgkmcnt(6)
	v_dual_add_f32 v134, v31, v33 :: v_dual_add_f32 v135, v32, v36
	v_cndmask_b32_e64 v30, -v43, v43, s19
	ds_bpermute_b32 v43, v2, v6
	v_cndmask_b32_e64 v32, -v47, v47, s19
	s_waitcnt lgkmcnt(6)
	v_add_f32_e32 v136, v34, v41
	ds_bpermute_b32 v36, v2, v49
	ds_bpermute_b32 v41, v2, v50
	v_cndmask_b32_e64 v4, -v4, v4, s18
	ds_bpermute_b32 v138, v2, v45
	v_cndmask_b32_e64 v31, -v46, v46, s19
	;; [unrolled: 2-line block ×3, first 2 shown]
	s_waitcnt lgkmcnt(9)
	v_add_f32_e32 v158, v4, v29
	v_cndmask_b32_e64 v29, -v44, v44, s19
	s_waitcnt lgkmcnt(8)
	v_add_f32_e32 v4, v30, v42
	v_cndmask_b32_e64 v30, -v45, v45, s19
	ds_bpermute_b32 v34, v2, v48
	ds_bpermute_b32 v42, v2, v51
	s_waitcnt lgkmcnt(9)
	v_add_f32_e32 v137, v29, v137
	s_waitcnt lgkmcnt(8)
	v_add_f32_e32 v139, v31, v139
	;; [unrolled: 2-line block ×3, first 2 shown]
	v_cndmask_b32_e64 v31, -v49, v49, s19
	v_cndmask_b32_e64 v32, -v50, v50, s19
	ds_bpermute_b32 v45, v2, v52
	s_waitcnt lgkmcnt(7)
	v_add_f32_e32 v6, v6, v43
	ds_bpermute_b32 v44, v2, v8
	ds_bpermute_b32 v46, v2, v53
	s_waitcnt lgkmcnt(7)
	v_add_f32_e32 v143, v32, v41
	ds_bpermute_b32 v47, v2, v54
	v_cndmask_b32_e64 v32, -v54, v54, s19
	v_add_f32_e32 v142, v31, v36
	ds_bpermute_b32 v36, v2, v56
	v_cndmask_b32_e64 v7, -v7, v7, s19
	v_cndmask_b32_e64 v43, -v51, v51, s19
	;; [unrolled: 1-line block ×3, first 2 shown]
	ds_bpermute_b32 v41, v2, v59
	ds_bpermute_b32 v49, v2, v77
	s_waitcnt lgkmcnt(9)
	v_add_f32_e32 v140, v7, v33
	v_cndmask_b32_e64 v7, -v8, v8, s19
	v_cndmask_b32_e64 v8, -v52, v52, s19
	v_add_f32_e32 v138, v30, v138
	v_cndmask_b32_e64 v30, -v48, v48, s19
	ds_bpermute_b32 v48, v2, v55
	v_cndmask_b32_e64 v33, -v55, v55, s19
	s_waitcnt lgkmcnt(7)
	v_add_f32_e32 v145, v8, v45
	v_cndmask_b32_e64 v8, -v56, v56, s19
	v_add_f32_e32 v141, v30, v34
	v_add_f32_e32 v30, v43, v42
	ds_bpermute_b32 v34, v2, v9
	ds_bpermute_b32 v42, v2, v60
	;; [unrolled: 1-line block ×4, first 2 shown]
	s_waitcnt lgkmcnt(7)
	v_dual_add_f32 v146, v31, v46 :: v_dual_add_f32 v149, v8, v36
	v_add_f32_e32 v147, v32, v47
	v_cndmask_b32_e64 v32, -v60, v60, s19
	v_add_f32_e32 v144, v7, v44
	ds_bpermute_b32 v44, v2, v10
	ds_bpermute_b32 v46, v2, v63
	;; [unrolled: 1-line block ×4, first 2 shown]
	v_cndmask_b32_e64 v7, -v9, v9, s19
	v_cndmask_b32_e64 v9, -v59, v59, s19
	;; [unrolled: 1-line block ×3, first 2 shown]
	s_waitcnt lgkmcnt(8)
	v_add_f32_e32 v31, v33, v48
	v_cndmask_b32_e64 v33, -v61, v61, s19
	ds_bpermute_b32 v48, v2, v65
	s_waitcnt lgkmcnt(8)
	v_add_f32_e32 v148, v7, v34
	s_waitcnt lgkmcnt(7)
	v_add_f32_e32 v151, v32, v42
	;; [unrolled: 2-line block ×3, first 2 shown]
	v_cndmask_b32_e64 v7, -v10, v10, s19
	v_cndmask_b32_e64 v10, -v64, v64, s19
	v_add_f32_e32 v150, v9, v41
	v_cndmask_b32_e64 v9, -v63, v63, s19
	ds_bpermute_b32 v34, v2, v11
	ds_bpermute_b32 v41, v2, v67
	;; [unrolled: 1-line block ×3, first 2 shown]
	v_cndmask_b32_e64 v8, -v66, v66, s19
	s_waitcnt lgkmcnt(5)
	v_add_f32_e32 v155, v10, v47
	v_cndmask_b32_e64 v10, -v68, v68, s19
	ds_bpermute_b32 v45, v2, v70
	ds_bpermute_b32 v47, v2, v72
	s_waitcnt lgkmcnt(6)
	v_add_f32_e32 v68, v8, v36
	v_cndmask_b32_e64 v8, -v70, v70, s19
	v_add_f32_e32 v154, v9, v46
	v_cndmask_b32_e64 v9, -v67, v67, s19
	;; [unrolled: 2-line block ×3, first 2 shown]
	v_add_f32_e32 v32, v33, v43
	ds_bpermute_b32 v43, v2, v69
	ds_bpermute_b32 v44, v2, v12
	v_cndmask_b32_e64 v33, -v65, v65, s19
	v_cndmask_b32_e64 v11, -v69, v69, s19
	ds_bpermute_b32 v46, v2, v71
	s_waitcnt lgkmcnt(7)
	v_add_f32_e32 v67, v7, v34
	s_waitcnt lgkmcnt(6)
	v_add_f32_e32 v69, v9, v41
	s_waitcnt lgkmcnt(5)
	v_dual_add_f32 v33, v33, v48 :: v_dual_add_f32 v156, v10, v42
	v_cndmask_b32_e64 v7, -v12, v12, s19
	v_cndmask_b32_e64 v10, -v72, v72, s19
	ds_bpermute_b32 v41, v2, v74
	ds_bpermute_b32 v48, v2, v73
	v_cndmask_b32_e64 v9, -v71, v71, s19
	ds_bpermute_b32 v12, v2, v13
	ds_bpermute_b32 v42, v2, v75
	s_waitcnt lgkmcnt(8)
	v_add_f32_e32 v71, v8, v45
	v_cndmask_b32_e64 v8, -v74, v74, s19
	ds_bpermute_b32 v45, v2, v79
	s_waitcnt lgkmcnt(7)
	v_add_f32_e32 v34, v11, v43
	v_cndmask_b32_e64 v11, -v73, v73, s19
	ds_bpermute_b32 v43, v2, v76
	v_add_f32_e32 v73, v10, v47
	v_cndmask_b32_e64 v10, -v76, v76, s19
	s_waitcnt lgkmcnt(7)
	v_add_f32_e32 v70, v7, v44
	ds_bpermute_b32 v44, v2, v78
	s_waitcnt lgkmcnt(7)
	v_add_f32_e32 v72, v9, v46
	v_cndmask_b32_e64 v7, -v13, v13, s19
	v_cndmask_b32_e64 v9, -v75, v75, s19
	ds_bpermute_b32 v46, v2, v80
	s_waitcnt lgkmcnt(7)
	v_add_f32_e32 v75, v8, v41
	v_cndmask_b32_e64 v8, -v78, v78, s19
	s_waitcnt lgkmcnt(6)
	v_add_f32_e32 v36, v11, v48
	ds_bpermute_b32 v13, v2, v14
	ds_bpermute_b32 v47, v2, v81
	s_waitcnt lgkmcnt(6)
	v_add_f32_e32 v76, v9, v42
	v_cndmask_b32_e64 v9, -v79, v79, s19
	ds_bpermute_b32 v48, v2, v84
	v_cndmask_b32_e64 v11, -v77, v77, s19
	ds_bpermute_b32 v41, v2, v83
	s_waitcnt lgkmcnt(6)
	v_add_f32_e32 v77, v10, v43
	v_cndmask_b32_e64 v10, -v80, v80, s19
	v_add_f32_e32 v42, v11, v49
	v_cndmask_b32_e64 v11, -v81, v81, s19
	s_waitcnt lgkmcnt(5)
	v_add_f32_e32 v79, v8, v44
	v_cndmask_b32_e64 v8, -v82, v82, s19
	v_add_f32_e32 v74, v7, v12
	v_cndmask_b32_e64 v7, -v14, v14, s19
	ds_bpermute_b32 v14, v2, v82
	s_waitcnt lgkmcnt(5)
	v_add_f32_e32 v81, v10, v46
	v_cndmask_b32_e64 v10, -v84, v84, s19
	ds_bpermute_b32 v12, v2, v15
	ds_bpermute_b32 v49, v2, v85
	s_waitcnt lgkmcnt(5)
	v_add_f32_e32 v43, v11, v47
	v_cndmask_b32_e64 v11, -v85, v85, s19
	ds_bpermute_b32 v46, v2, v88
	s_waitcnt lgkmcnt(5)
	v_add_f32_e32 v85, v10, v48
	v_cndmask_b32_e64 v10, -v88, v88, s19
	v_add_f32_e32 v80, v9, v45
	v_cndmask_b32_e64 v9, -v83, v83, s19
	ds_bpermute_b32 v45, v2, v87
	ds_bpermute_b32 v47, v2, v89
	;; [unrolled: 1-line block ×3, first 2 shown]
	s_waitcnt lgkmcnt(6)
	v_add_f32_e32 v83, v8, v14
	v_cndmask_b32_e64 v8, -v86, v86, s19
	v_add_f32_e32 v78, v7, v13
	v_cndmask_b32_e64 v7, -v15, v15, s19
	ds_bpermute_b32 v15, v2, v86
	ds_bpermute_b32 v13, v2, v16
	s_waitcnt lgkmcnt(6)
	v_add_f32_e32 v44, v11, v49
	v_cndmask_b32_e64 v11, -v89, v89, s19
	v_add_f32_e32 v84, v9, v41
	v_cndmask_b32_e64 v9, -v87, v87, s19
	ds_bpermute_b32 v14, v2, v90
	ds_bpermute_b32 v41, v2, v92
	s_waitcnt lgkmcnt(7)
	v_add_f32_e32 v89, v10, v46
	v_cndmask_b32_e64 v10, -v92, v92, s19
	s_waitcnt lgkmcnt(6)
	v_add_f32_e32 v88, v9, v45
	v_cndmask_b32_e64 v9, -v91, v91, s19
	;; [unrolled: 3-line block ×3, first 2 shown]
	ds_bpermute_b32 v47, v2, v96
	ds_bpermute_b32 v49, v2, v97
	s_waitcnt lgkmcnt(5)
	v_add_f32_e32 v87, v8, v15
	v_cndmask_b32_e64 v8, -v90, v90, s19
	v_add_f32_e32 v82, v7, v12
	v_cndmask_b32_e64 v7, -v16, v16, s19
	ds_bpermute_b32 v16, v2, v91
	ds_bpermute_b32 v15, v2, v94
	s_waitcnt lgkmcnt(5)
	v_add_f32_e32 v91, v8, v14
	ds_bpermute_b32 v12, v2, v17
	s_waitcnt lgkmcnt(5)
	v_add_f32_e32 v93, v10, v41
	v_cndmask_b32_e64 v10, -v96, v96, s19
	v_add_f32_e32 v86, v7, v13
	v_cndmask_b32_e64 v7, -v17, v17, s19
	ds_bpermute_b32 v17, v2, v95
	ds_bpermute_b32 v14, v2, v98
	v_cndmask_b32_e64 v8, -v94, v94, s19
	ds_bpermute_b32 v13, v2, v18
	ds_bpermute_b32 v41, v2, v101
	s_waitcnt lgkmcnt(6)
	v_add_f32_e32 v92, v9, v16
	v_cndmask_b32_e64 v9, -v95, v95, s19
	s_waitcnt lgkmcnt(5)
	v_add_f32_e32 v95, v8, v15
	v_cndmask_b32_e64 v8, -v98, v98, s19
	ds_bpermute_b32 v16, v2, v99
	ds_bpermute_b32 v15, v2, v102
	s_waitcnt lgkmcnt(5)
	v_add_f32_e32 v96, v9, v17
	v_cndmask_b32_e64 v9, -v99, v99, s19
	s_waitcnt lgkmcnt(4)
	v_add_f32_e32 v99, v8, v14
	v_cndmask_b32_e64 v8, -v102, v102, s19
	v_add_f32_e32 v46, v11, v48
	v_cndmask_b32_e64 v11, -v97, v97, s19
	;; [unrolled: 2-line block ×4, first 2 shown]
	ds_bpermute_b32 v18, v2, v100
	ds_bpermute_b32 v12, v2, v19
	v_add_f32_e32 v47, v11, v49
	v_cndmask_b32_e64 v11, -v101, v101, s19
	ds_bpermute_b32 v17, v2, v103
	ds_bpermute_b32 v14, v2, v106
	s_waitcnt lgkmcnt(5)
	v_add_f32_e32 v100, v9, v16
	ds_bpermute_b32 v49, v2, v105
	v_cndmask_b32_e64 v9, -v103, v103, s19
	ds_bpermute_b32 v16, v2, v107
	s_waitcnt lgkmcnt(6)
	v_add_f32_e32 v103, v8, v15
	v_cndmask_b32_e64 v8, -v106, v106, s19
	ds_bpermute_b32 v15, v2, v110
	s_waitcnt lgkmcnt(6)
	v_add_f32_e32 v101, v10, v18
	v_cndmask_b32_e64 v10, -v104, v104, s19
	v_add_f32_e32 v94, v7, v13
	v_cndmask_b32_e64 v7, -v19, v19, s19
	ds_bpermute_b32 v19, v2, v104
	ds_bpermute_b32 v13, v2, v20
	;; [unrolled: 1-line block ×3, first 2 shown]
	s_waitcnt lgkmcnt(7)
	v_add_f32_e32 v104, v9, v17
	v_cndmask_b32_e64 v9, -v107, v107, s19
	ds_bpermute_b32 v17, v2, v111
	s_waitcnt lgkmcnt(7)
	v_add_f32_e32 v107, v8, v14
	v_cndmask_b32_e64 v8, -v110, v110, s19
	v_add_f32_e32 v48, v11, v41
	v_cndmask_b32_e64 v11, -v105, v105, s19
	ds_bpermute_b32 v14, v2, v114
	s_waitcnt lgkmcnt(7)
	v_add_f32_e32 v49, v11, v49
	v_cndmask_b32_e64 v11, -v109, v109, s19
	s_waitcnt lgkmcnt(4)
	v_add_f32_e32 v105, v10, v19
	v_cndmask_b32_e64 v10, -v108, v108, s19
	v_add_f32_e32 v108, v9, v16
	v_add_f32_e32 v98, v7, v12
	v_cndmask_b32_e64 v7, -v20, v20, s19
	ds_bpermute_b32 v20, v2, v109
	s_waitcnt lgkmcnt(3)
	v_add_f32_e32 v109, v10, v18
	ds_bpermute_b32 v19, v2, v112
	ds_bpermute_b32 v12, v2, v21
	v_cndmask_b32_e64 v10, -v112, v112, s19
	v_add_f32_e32 v102, v7, v13
	v_cndmask_b32_e64 v7, -v21, v21, s19
	ds_bpermute_b32 v21, v2, v113
	ds_bpermute_b32 v18, v2, v116
	v_cndmask_b32_e64 v9, -v111, v111, s19
	ds_bpermute_b32 v16, v2, v115
	v_add_f32_e32 v111, v8, v15
	v_cndmask_b32_e64 v8, -v114, v114, s19
	ds_bpermute_b32 v15, v2, v118
	ds_bpermute_b32 v13, v2, v22
	s_waitcnt lgkmcnt(9)
	v_add_f32_e32 v112, v9, v17
	v_cndmask_b32_e64 v9, -v115, v115, s19
	ds_bpermute_b32 v17, v2, v119
	s_waitcnt lgkmcnt(9)
	v_add_f32_e32 v115, v8, v14
	v_cndmask_b32_e64 v8, -v118, v118, s19
	s_waitcnt lgkmcnt(8)
	v_add_f32_e32 v50, v11, v20
	v_cndmask_b32_e64 v11, -v113, v113, s19
	ds_bpermute_b32 v20, v2, v117
	s_waitcnt lgkmcnt(8)
	v_add_f32_e32 v113, v10, v19
	v_cndmask_b32_e64 v10, -v116, v116, s19
	ds_bpermute_b32 v19, v2, v120
	ds_bpermute_b32 v14, v2, v122
	s_waitcnt lgkmcnt(9)
	v_add_f32_e32 v106, v7, v12
	ds_bpermute_b32 v12, v2, v23
	s_waitcnt lgkmcnt(7)
	v_dual_add_f32 v51, v11, v21 :: v_dual_add_f32 v116, v9, v16
	v_cndmask_b32_e64 v11, -v117, v117, s19
	ds_bpermute_b32 v21, v2, v121
	v_add_f32_e32 v117, v10, v18
	ds_bpermute_b32 v18, v2, v124
	v_cndmask_b32_e64 v7, -v22, v22, s19
	v_cndmask_b32_e64 v9, -v119, v119, s19
	;; [unrolled: 1-line block ×3, first 2 shown]
	ds_bpermute_b32 v16, v2, v123
	s_waitcnt lgkmcnt(9)
	v_add_f32_e32 v119, v8, v15
	v_cndmask_b32_e64 v8, -v122, v122, s19
	s_waitcnt lgkmcnt(8)
	v_add_f32_e32 v110, v7, v13
	v_cndmask_b32_e64 v7, -v23, v23, s19
	ds_bpermute_b32 v13, v2, v24
	s_waitcnt lgkmcnt(8)
	v_add_f32_e32 v120, v9, v17
	v_cndmask_b32_e64 v9, -v123, v123, s19
	ds_bpermute_b32 v15, v2, v126
	ds_bpermute_b32 v17, v2, v127
	s_waitcnt lgkmcnt(7)
	v_add_f32_e32 v123, v8, v14
	v_cndmask_b32_e64 v8, -v126, v126, s19
	v_add_f32_e32 v52, v11, v20
	v_cndmask_b32_e64 v11, -v121, v121, s19
	ds_bpermute_b32 v20, v2, v125
	v_add_f32_e32 v121, v10, v19
	v_cndmask_b32_e64 v10, -v124, v124, s19
	ds_bpermute_b32 v19, v2, v128
	s_waitcnt lgkmcnt(8)
	v_add_f32_e32 v114, v7, v12
	ds_bpermute_b32 v12, v2, v25
	s_waitcnt lgkmcnt(6)
	v_dual_add_f32 v53, v11, v21 :: v_dual_add_f32 v124, v9, v16
	v_cndmask_b32_e64 v11, -v125, v125, s19
	ds_bpermute_b32 v21, v2, v129
	v_add_f32_e32 v125, v10, v18
	ds_bpermute_b32 v14, v2, v130
	ds_bpermute_b32 v18, v2, v132
	v_cndmask_b32_e64 v7, -v24, v24, s19
	v_cndmask_b32_e64 v9, -v127, v127, s19
	;; [unrolled: 1-line block ×3, first 2 shown]
	ds_bpermute_b32 v16, v2, v131
	s_waitcnt lgkmcnt(8)
	v_dual_add_f32 v127, v8, v15 :: v_dual_add_f32 v118, v7, v13
	v_cndmask_b32_e64 v7, -v25, v25, s19
	ds_bpermute_b32 v13, v2, v26
	s_waitcnt lgkmcnt(8)
	v_add_f32_e32 v128, v9, v17
	v_cndmask_b32_e64 v8, -v130, v130, s19
	ds_bpermute_b32 v15, v2, v57
	ds_bpermute_b32 v17, v2, v58
	s_waitcnt lgkmcnt(9)
	v_add_f32_e32 v54, v11, v20
	v_cndmask_b32_e64 v11, -v129, v129, s19
	s_waitcnt lgkmcnt(8)
	v_add_f32_e32 v129, v10, v19
	v_cndmask_b32_e64 v10, -v132, v132, s19
	s_waitcnt lgkmcnt(7)
	v_add_f32_e32 v122, v7, v12
	ds_bpermute_b32 v12, v2, v27
	ds_bpermute_b32 v20, v2, v133
	v_cndmask_b32_e64 v9, -v131, v131, s19
	s_waitcnt lgkmcnt(8)
	v_add_f32_e32 v55, v11, v21
	v_cndmask_b32_e64 v11, -v133, v133, s19
	s_waitcnt lgkmcnt(7)
	v_add_f32_e32 v131, v8, v14
	s_waitcnt lgkmcnt(5)
	v_dual_add_f32 v133, v10, v18 :: v_dual_add_f32 v132, v9, v16
	ds_bpermute_b32 v10, v2, v3
	ds_bpermute_b32 v14, v2, v5
	v_cndmask_b32_e64 v7, -v26, v26, s19
	v_cndmask_b32_e64 v8, -v57, v57, s19
	;; [unrolled: 1-line block ×3, first 2 shown]
	ds_bpermute_b32 v16, v2, v157
	v_cndmask_b32_e64 v3, -v3, v3, s19
	v_cndmask_b32_e64 v5, -v5, v5, s19
	ds_bpermute_b32 v19, v2, v35
	s_waitcnt lgkmcnt(6)
	v_add_f32_e32 v161, v9, v17
	v_cndmask_b32_e64 v17, -v157, v157, s19
	v_add_f32_e32 v160, v8, v15
	v_cndmask_b32_e64 v8, -v167, v167, s19
	v_add_f32_e32 v126, v7, v13
	v_cndmask_b32_e64 v7, -v27, v27, s19
	ds_bpermute_b32 v9, v2, v163
	ds_bpermute_b32 v13, v2, v28
	v_cndmask_b32_e64 v18, -v35, v35, s19
	ds_bpermute_b32 v21, v2, v40
	ds_bpermute_b32 v15, v2, v165
	s_waitcnt lgkmcnt(7)
	v_add_f32_e32 v57, v3, v10
	v_cndmask_b32_e64 v3, -v163, v163, s19
	s_waitcnt lgkmcnt(6)
	v_add_f32_e32 v60, v5, v14
	v_cndmask_b32_e64 v5, -v164, v164, s19
	v_add_f32_e32 v130, v7, v12
	ds_bpermute_b32 v12, v2, v167
	v_cndmask_b32_e64 v7, -v28, v28, s19
	ds_bpermute_b32 v10, v2, v158
	s_waitcnt lgkmcnt(6)
	v_dual_add_f32 v41, v17, v16 :: v_dual_add_f32 v162, v18, v19
	s_waitcnt lgkmcnt(5)
	v_add_f32_e32 v157, v3, v9
	s_waitcnt lgkmcnt(4)
	v_add_f32_e32 v159, v7, v13
	v_cndmask_b32_e64 v7, -v166, v166, s19
	ds_bpermute_b32 v13, v2, v164
	v_cndmask_b32_e64 v3, -v158, v158, s19
	s_waitcnt lgkmcnt(2)
	v_add_f32_e32 v59, v8, v12
	v_xor_b32_e32 v8, 16, v1
	ds_bpermute_b32 v12, v2, v135
	v_cmp_gt_i32_e64 s20, 32, v8
	s_delay_alu instid0(VALU_DEP_1)
	v_cndmask_b32_e64 v1, v1, v8, s20
	v_add_f32_e32 v56, v11, v20
	ds_bpermute_b32 v11, v2, v166
	v_cndmask_b32_e64 v20, -v40, v40, s19
	s_waitcnt lgkmcnt(2)
	v_add_f32_e32 v61, v5, v13
	v_lshlrev_b32_e32 v63, 2, v1
	v_cndmask_b32_e64 v1, -v134, v134, s19
	v_cndmask_b32_e64 v5, -v135, v135, s19
	v_add_f32_e32 v40, v20, v21
	ds_bpermute_b32 v9, v63, v4
	ds_bpermute_b32 v13, v63, v6
	s_waitcnt lgkmcnt(3)
	v_add_f32_e32 v65, v5, v12
	ds_bpermute_b32 v14, v63, v137
	v_and_b32_e32 v8, 16, v0
	ds_bpermute_b32 v16, v63, v139
	ds_bpermute_b32 v12, v63, v140
	;; [unrolled: 1-line block ×7, first 2 shown]
	s_waitcnt lgkmcnt(10)
	v_add_f32_e32 v58, v7, v11
	ds_bpermute_b32 v11, v2, v134
	ds_bpermute_b32 v2, v2, v136
	v_cndmask_b32_e64 v7, -v165, v165, s19
	ds_bpermute_b32 v21, v63, v31
	ds_bpermute_b32 v23, v63, v149
	;; [unrolled: 1-line block ×4, first 2 shown]
	v_add_f32_e32 v62, v7, v15
	ds_bpermute_b32 v15, v63, v138
	v_cndmask_b32_e64 v7, -v136, v136, s19
	v_cmp_eq_u32_e64 s19, 0, v8
	ds_bpermute_b32 v136, v63, v69
	ds_bpermute_b32 v26, v63, v32
	ds_bpermute_b32 v27, v63, v152
	ds_bpermute_b32 v28, v63, v153
	ds_bpermute_b32 v35, v63, v67
	ds_bpermute_b32 v135, v63, v68
	s_waitcnt lgkmcnt(12)
	v_add_f32_e32 v64, v1, v11
	ds_bpermute_b32 v11, v63, v29
	s_waitcnt lgkmcnt(12)
	v_add_f32_e32 v66, v7, v2
	v_cndmask_b32_e64 v1, -v4, v4, s19
	v_cndmask_b32_e64 v2, -v6, v6, s19
	;; [unrolled: 1-line block ×3, first 2 shown]
	ds_bpermute_b32 v138, v63, v88
	v_add_f32_e32 v5, v1, v9
	v_cndmask_b32_e64 v9, -v142, v142, s19
	v_add_f32_e32 v6, v2, v13
	v_cndmask_b32_e64 v2, -v29, v29, s19
	ds_bpermute_b32 v13, v63, v30
	ds_bpermute_b32 v29, v63, v154
	v_add_f32_e32 v9, v9, v18
	v_cndmask_b32_e64 v18, -v146, v146, s19
	ds_bpermute_b32 v142, v63, v59
	s_waitcnt lgkmcnt(4)
	v_add_f32_e32 v2, v2, v11
	v_cndmask_b32_e64 v11, -v30, v30, s19
	v_add_f32_e32 v8, v4, v15
	v_cndmask_b32_e64 v4, -v141, v141, s19
	ds_bpermute_b32 v15, v63, v145
	ds_bpermute_b32 v30, v63, v155
	;; [unrolled: 1-line block ×3, first 2 shown]
	v_add_f32_e32 v4, v4, v17
	v_cndmask_b32_e64 v17, -v145, v145, s19
	v_add_f32_e32 v134, v3, v10
	v_cndmask_b32_e64 v3, -v137, v137, s19
	v_cndmask_b32_e64 v10, -v139, v139, s19
	s_waitcnt lgkmcnt(5)
	v_add_f32_e32 v11, v11, v13
	ds_bpermute_b32 v137, v63, v156
	ds_bpermute_b32 v139, v63, v89
	v_add_f32_e32 v7, v3, v14
	v_add_f32_e32 v1, v10, v16
	ds_bpermute_b32 v14, v63, v144
	ds_bpermute_b32 v16, v63, v146
	v_cndmask_b32_e64 v3, -v140, v140, s19
	v_cndmask_b32_e64 v10, -v143, v143, s19
	ds_bpermute_b32 v140, v63, v57
	ds_bpermute_b32 v143, v63, v60
	s_waitcnt lgkmcnt(8)
	v_add_f32_e32 v13, v17, v15
	v_add_f32_e32 v3, v3, v12
	v_cndmask_b32_e64 v12, -v144, v144, s19
	v_add_f32_e32 v10, v10, v19
	v_cndmask_b32_e64 v19, -v147, v147, s19
	v_cndmask_b32_e64 v17, -v148, v148, s19
	ds_bpermute_b32 v145, v63, v134
	ds_bpermute_b32 v144, v63, v62
	v_add_f32_e32 v15, v19, v20
	v_cndmask_b32_e64 v19, -v150, v150, s19
	v_cndmask_b32_e64 v20, -v151, v151, s19
	v_add_f32_e32 v17, v17, v22
	v_cndmask_b32_e64 v22, -v152, v152, s19
	s_waitcnt lgkmcnt(5)
	v_add_f32_e32 v12, v12, v14
	s_waitcnt lgkmcnt(4)
	v_add_f32_e32 v14, v18, v16
	v_cndmask_b32_e64 v16, -v31, v31, s19
	v_cndmask_b32_e64 v18, -v149, v149, s19
	;; [unrolled: 1-line block ×3, first 2 shown]
	v_dual_add_f32 v19, v19, v24 :: v_dual_add_f32 v20, v20, v25
	s_delay_alu instid0(VALU_DEP_4) | instskip(NEXT) | instid1(VALU_DEP_4)
	v_add_f32_e32 v16, v16, v21
	v_add_f32_e32 v18, v18, v23
	v_cndmask_b32_e64 v21, -v32, v32, s19
	v_cndmask_b32_e64 v23, -v153, v153, s19
	;; [unrolled: 1-line block ×3, first 2 shown]
	ds_bpermute_b32 v32, v63, v33
	v_dual_add_f32 v25, v21, v26 :: v_dual_add_f32 v26, v22, v27
	v_add_f32_e32 v27, v23, v28
	v_cndmask_b32_e64 v23, -v67, v67, s19
	v_add_f32_e32 v21, v31, v30
	v_cndmask_b32_e64 v22, -v33, v33, s19
	ds_bpermute_b32 v31, v63, v34
	ds_bpermute_b32 v33, v63, v70
	;; [unrolled: 1-line block ×3, first 2 shown]
	v_add_f32_e32 v23, v23, v35
	v_cndmask_b32_e64 v35, -v71, v71, s19
	v_add_f32_e32 v28, v24, v29
	v_cndmask_b32_e64 v29, -v69, v69, s19
	ds_bpermute_b32 v69, v63, v73
	v_cndmask_b32_e64 v24, -v68, v68, s19
	ds_bpermute_b32 v68, v63, v72
	;; [unrolled: 2-line block ×3, first 2 shown]
	s_waitcnt lgkmcnt(6)
	v_add_f32_e32 v22, v22, v32
	v_add_f32_e32 v29, v29, v136
	v_cndmask_b32_e64 v32, -v34, v34, s19
	v_cndmask_b32_e64 v34, -v70, v70, s19
	ds_bpermute_b32 v136, v63, v76
	v_cndmask_b32_e64 v30, -v156, v156, s19
	v_cndmask_b32_e64 v70, -v72, v72, s19
	ds_bpermute_b32 v72, v63, v36
	s_waitcnt lgkmcnt(6)
	v_dual_add_f32 v31, v32, v31 :: v_dual_add_f32 v32, v34, v33
	s_waitcnt lgkmcnt(5)
	v_add_f32_e32 v33, v35, v67
	v_cndmask_b32_e64 v67, -v74, v74, s19
	ds_bpermute_b32 v74, v63, v78
	v_cndmask_b32_e64 v36, -v36, v36, s19
	s_waitcnt lgkmcnt(5)
	v_add_f32_e32 v35, v71, v69
	ds_bpermute_b32 v71, v63, v42
	s_waitcnt lgkmcnt(5)
	v_add_f32_e32 v34, v70, v68
	v_cndmask_b32_e64 v68, -v75, v75, s19
	v_cndmask_b32_e64 v69, -v76, v76, s19
	v_add_f32_e32 v24, v24, v135
	ds_bpermute_b32 v135, v63, v75
	v_cndmask_b32_e64 v70, -v77, v77, s19
	ds_bpermute_b32 v75, v63, v79
	s_waitcnt lgkmcnt(5)
	v_add_f32_e32 v69, v69, v136
	ds_bpermute_b32 v76, v63, v80
	v_add_f32_e32 v67, v67, v73
	v_cndmask_b32_e64 v73, -v79, v79, s19
	v_add_f32_e32 v30, v30, v137
	ds_bpermute_b32 v137, v63, v77
	ds_bpermute_b32 v77, v63, v81
	v_cndmask_b32_e64 v79, -v81, v81, s19
	ds_bpermute_b32 v81, v63, v82
	v_cndmask_b32_e64 v42, -v42, v42, s19
	ds_bpermute_b32 v136, v63, v84
	s_waitcnt lgkmcnt(9)
	v_add_f32_e32 v36, v36, v72
	v_cndmask_b32_e64 v72, -v78, v78, s19
	v_cndmask_b32_e64 v78, -v80, v80, s19
	s_waitcnt lgkmcnt(7)
	v_add_f32_e32 v71, v42, v71
	ds_bpermute_b32 v80, v63, v43
	v_cndmask_b32_e64 v42, -v43, v43, s19
	v_cndmask_b32_e64 v43, -v82, v82, s19
	s_waitcnt lgkmcnt(7)
	v_add_f32_e32 v68, v68, v135
	ds_bpermute_b32 v135, v63, v83
	s_waitcnt lgkmcnt(7)
	v_dual_add_f32 v72, v72, v74 :: v_dual_add_f32 v73, v73, v75
	s_waitcnt lgkmcnt(6)
	v_add_f32_e32 v74, v78, v76
	v_cndmask_b32_e64 v78, -v83, v83, s19
	v_cndmask_b32_e64 v82, -v85, v85, s19
	ds_bpermute_b32 v83, v63, v44
	s_waitcnt lgkmcnt(5)
	v_add_f32_e32 v75, v79, v77
	v_cndmask_b32_e64 v79, -v84, v84, s19
	ds_bpermute_b32 v84, v63, v86
	s_waitcnt lgkmcnt(5)
	v_add_f32_e32 v77, v43, v81
	v_cndmask_b32_e64 v43, -v86, v86, s19
	v_cndmask_b32_e64 v86, -v88, v88, s19
	ds_bpermute_b32 v88, v63, v45
	v_cndmask_b32_e64 v45, -v45, v45, s19
	v_add_f32_e32 v70, v70, v137
	ds_bpermute_b32 v137, v63, v85
	ds_bpermute_b32 v85, v63, v87
	s_waitcnt lgkmcnt(7)
	v_add_f32_e32 v79, v79, v136
	ds_bpermute_b32 v136, v63, v92
	s_waitcnt lgkmcnt(7)
	v_add_f32_e32 v76, v42, v80
	v_cndmask_b32_e64 v42, -v44, v44, s19
	v_cndmask_b32_e64 v44, -v87, v87, s19
	;; [unrolled: 1-line block ×3, first 2 shown]
	ds_bpermute_b32 v89, v63, v90
	s_waitcnt lgkmcnt(6)
	v_add_f32_e32 v81, v42, v83
	v_cndmask_b32_e64 v83, -v90, v90, s19
	ds_bpermute_b32 v90, v63, v94
	s_waitcnt lgkmcnt(5)
	v_add_f32_e32 v45, v45, v88
	v_cndmask_b32_e64 v88, -v94, v94, s19
	v_cndmask_b32_e64 v94, -v96, v96, s19
	s_waitcnt lgkmcnt(3)
	v_add_f32_e32 v42, v44, v85
	v_add_f32_e32 v44, v87, v139
	v_cndmask_b32_e64 v85, -v92, v92, s19
	v_add_f32_e32 v78, v78, v135
	ds_bpermute_b32 v135, v63, v91
	ds_bpermute_b32 v87, v63, v46
	;; [unrolled: 1-line block ×3, first 2 shown]
	s_waitcnt lgkmcnt(5)
	v_add_f32_e32 v85, v85, v136
	ds_bpermute_b32 v136, v63, v100
	v_add_f32_e32 v80, v82, v137
	ds_bpermute_b32 v137, v63, v93
	v_dual_add_f32 v82, v43, v84 :: v_dual_add_f32 v43, v86, v138
	v_cndmask_b32_e64 v84, -v91, v91, s19
	v_cndmask_b32_e64 v86, -v93, v93, s19
	ds_bpermute_b32 v91, v63, v95
	ds_bpermute_b32 v93, v63, v97
	v_cndmask_b32_e64 v46, -v46, v46, s19
	ds_bpermute_b32 v96, v63, v47
	s_waitcnt lgkmcnt(9)
	v_add_f32_e32 v83, v83, v89
	v_cndmask_b32_e64 v89, -v95, v95, s19
	v_cndmask_b32_e64 v95, -v97, v97, s19
	ds_bpermute_b32 v97, v63, v98
	ds_bpermute_b32 v139, v63, v105
	s_waitcnt lgkmcnt(9)
	v_add_f32_e32 v84, v84, v135
	ds_bpermute_b32 v135, v63, v99
	s_waitcnt lgkmcnt(9)
	v_add_f32_e32 v87, v46, v87
	v_cndmask_b32_e64 v46, -v47, v47, s19
	v_cndmask_b32_e64 v47, -v98, v98, s19
	v_add_f32_e32 v88, v88, v90
	s_waitcnt lgkmcnt(8)
	v_add_f32_e32 v90, v94, v92
	v_cndmask_b32_e64 v94, -v99, v99, s19
	ds_bpermute_b32 v99, v63, v48
	s_waitcnt lgkmcnt(7)
	v_add_f32_e32 v86, v86, v137
	ds_bpermute_b32 v137, v63, v101
	s_waitcnt lgkmcnt(7)
	v_add_f32_e32 v89, v89, v91
	s_waitcnt lgkmcnt(6)
	v_add_f32_e32 v91, v95, v93
	v_cndmask_b32_e64 v95, -v100, v100, s19
	ds_bpermute_b32 v100, v63, v102
	v_cndmask_b32_e64 v98, -v101, v101, s19
	ds_bpermute_b32 v101, v63, v103
	s_waitcnt lgkmcnt(7)
	v_add_f32_e32 v92, v46, v96
	v_cndmask_b32_e64 v46, -v48, v48, s19
	v_cndmask_b32_e64 v48, -v103, v103, s19
	;; [unrolled: 1-line block ×3, first 2 shown]
	ds_bpermute_b32 v105, v63, v106
	ds_bpermute_b32 v138, v63, v104
	s_waitcnt lgkmcnt(8)
	v_add_f32_e32 v93, v47, v97
	v_add_f32_e32 v95, v95, v136
	v_cndmask_b32_e64 v47, -v102, v102, s19
	v_cndmask_b32_e64 v102, -v104, v104, s19
	ds_bpermute_b32 v104, v63, v49
	ds_bpermute_b32 v136, v63, v108
	s_waitcnt lgkmcnt(7)
	v_add_f32_e32 v97, v46, v99
	v_cndmask_b32_e64 v46, -v49, v49, s19
	v_cndmask_b32_e64 v49, -v108, v108, s19
	ds_bpermute_b32 v108, v63, v110
	s_waitcnt lgkmcnt(7)
	v_add_f32_e32 v96, v98, v137
	s_waitcnt lgkmcnt(6)
	v_add_f32_e32 v98, v47, v100
	v_cndmask_b32_e64 v47, -v106, v106, s19
	s_waitcnt lgkmcnt(5)
	v_add_f32_e32 v99, v48, v101
	v_add_f32_e32 v101, v103, v139
	;; [unrolled: 1-line block ×3, first 2 shown]
	ds_bpermute_b32 v135, v63, v107
	ds_bpermute_b32 v139, v63, v113
	s_waitcnt lgkmcnt(6)
	v_add_f32_e32 v103, v47, v105
	v_cndmask_b32_e64 v47, -v110, v110, s19
	ds_bpermute_b32 v137, v63, v109
	v_cndmask_b32_e64 v48, -v107, v107, s19
	v_cndmask_b32_e64 v106, -v109, v109, s19
	ds_bpermute_b32 v107, v63, v50
	ds_bpermute_b32 v109, v63, v111
	s_waitcnt lgkmcnt(6)
	v_add_f32_e32 v105, v49, v136
	v_cndmask_b32_e64 v49, -v112, v112, s19
	ds_bpermute_b32 v136, v63, v116
	s_waitcnt lgkmcnt(6)
	v_add_f32_e32 v108, v47, v108
	v_cndmask_b32_e64 v47, -v114, v114, s19
	v_add_f32_e32 v100, v102, v138
	ds_bpermute_b32 v138, v63, v112
	ds_bpermute_b32 v112, v63, v51
	s_waitcnt lgkmcnt(1)
	v_add_f32_e32 v110, v49, v138
	ds_bpermute_b32 v138, v63, v121
	v_add_f32_e32 v102, v46, v104
	v_add_f32_e32 v104, v48, v135
	ds_bpermute_b32 v135, v63, v115
	v_cndmask_b32_e64 v46, -v50, v50, s19
	v_cndmask_b32_e64 v48, -v111, v111, s19
	;; [unrolled: 1-line block ×3, first 2 shown]
	ds_bpermute_b32 v113, v63, v114
	v_cndmask_b32_e64 v49, -v116, v116, s19
	v_add_f32_e32 v107, v46, v107
	v_add_f32_e32 v109, v48, v109
	v_cndmask_b32_e64 v46, -v51, v51, s19
	v_cndmask_b32_e64 v48, -v115, v115, s19
	ds_bpermute_b32 v51, v63, v52
	v_add_f32_e32 v111, v50, v139
	v_cndmask_b32_e64 v50, -v117, v117, s19
	ds_bpermute_b32 v115, v63, v118
	ds_bpermute_b32 v116, v63, v119
	v_add_f32_e32 v49, v49, v136
	ds_bpermute_b32 v136, v63, v124
	s_waitcnt lgkmcnt(7)
	v_add_f32_e32 v112, v46, v112
	v_cndmask_b32_e64 v46, -v52, v52, s19
	ds_bpermute_b32 v139, v63, v129
	s_waitcnt lgkmcnt(6)
	v_add_f32_e32 v114, v48, v135
	v_cndmask_b32_e64 v48, -v119, v119, s19
	v_add_f32_e32 v106, v106, v137
	ds_bpermute_b32 v137, v63, v117
	ds_bpermute_b32 v117, v63, v120
	v_cndmask_b32_e64 v119, -v121, v121, s19
	ds_bpermute_b32 v121, v63, v122
	s_waitcnt lgkmcnt(8)
	v_add_f32_e32 v113, v47, v113
	v_cndmask_b32_e64 v47, -v118, v118, s19
	v_cndmask_b32_e64 v118, -v120, v120, s19
	ds_bpermute_b32 v120, v63, v53
	s_waitcnt lgkmcnt(8)
	v_add_f32_e32 v51, v46, v51
	v_cndmask_b32_e64 v46, -v53, v53, s19
	v_cndmask_b32_e64 v53, -v124, v124, s19
	ds_bpermute_b32 v124, v63, v126
	ds_bpermute_b32 v135, v63, v123
	s_waitcnt lgkmcnt(8)
	v_dual_add_f32 v52, v47, v115 :: v_dual_add_f32 v115, v48, v116
	v_cndmask_b32_e64 v48, -v123, v123, s19
	ds_bpermute_b32 v123, v63, v54
	v_cndmask_b32_e64 v47, -v122, v122, s19
	v_cndmask_b32_e64 v122, -v125, v125, s19
	s_waitcnt lgkmcnt(5)
	v_dual_add_f32 v116, v118, v117 :: v_dual_add_f32 v117, v119, v138
	ds_bpermute_b32 v138, v63, v128
	s_waitcnt lgkmcnt(5)
	v_add_f32_e32 v119, v47, v121
	v_cndmask_b32_e64 v47, -v126, v126, s19
	v_add_f32_e32 v121, v53, v136
	v_cndmask_b32_e64 v53, -v128, v128, s19
	ds_bpermute_b32 v136, v63, v132
	ds_bpermute_b32 v128, v63, v55
	s_waitcnt lgkmcnt(5)
	v_add_f32_e32 v124, v47, v124
	v_cndmask_b32_e64 v47, -v130, v130, s19
	v_add_f32_e32 v118, v46, v120
	v_cndmask_b32_e64 v46, -v54, v54, s19
	s_waitcnt lgkmcnt(4)
	v_add_f32_e32 v120, v48, v135
	ds_bpermute_b32 v135, v63, v131
	v_cndmask_b32_e64 v48, -v127, v127, s19
	v_cndmask_b32_e64 v54, -v129, v129, s19
	s_waitcnt lgkmcnt(4)
	v_add_f32_e32 v123, v46, v123
	ds_bpermute_b32 v129, v63, v130
	v_cndmask_b32_e64 v46, -v55, v55, s19
	ds_bpermute_b32 v55, v63, v56
	s_waitcnt lgkmcnt(5)
	v_add_f32_e32 v126, v53, v138
	v_cndmask_b32_e64 v53, -v132, v132, s19
	v_add_f32_e32 v50, v50, v137
	ds_bpermute_b32 v137, v63, v125
	ds_bpermute_b32 v125, v63, v127
	;; [unrolled: 1-line block ×3, first 2 shown]
	s_waitcnt lgkmcnt(7)
	v_add_f32_e32 v53, v53, v136
	ds_bpermute_b32 v138, v63, v162
	v_cndmask_b32_e64 v136, -v161, v161, s19
	v_add_f32_e32 v127, v54, v139
	ds_bpermute_b32 v139, v63, v40
	v_cndmask_b32_e64 v54, -v133, v133, s19
	v_cndmask_b32_e64 v40, -v40, v40, s19
	s_waitcnt lgkmcnt(6)
	v_add_f32_e32 v129, v47, v129
	v_cndmask_b32_e64 v47, -v159, v159, s19
	s_waitcnt lgkmcnt(3)
	v_add_f32_e32 v125, v48, v125
	v_cndmask_b32_e64 v48, -v131, v131, s19
	ds_bpermute_b32 v131, v63, v159
	v_add_f32_e32 v130, v48, v135
	v_cndmask_b32_e64 v48, -v160, v160, s19
	s_waitcnt lgkmcnt(3)
	s_delay_alu instid0(VALU_DEP_1)
	v_add_f32_e32 v135, v48, v132
	v_cndmask_b32_e64 v48, -v57, v57, s19
	v_add_f32_e32 v122, v122, v137
	ds_bpermute_b32 v137, v63, v133
	v_cndmask_b32_e64 v57, -v58, v58, s19
	v_cndmask_b32_e64 v58, -v59, v59, s19
	;; [unrolled: 1-line block ×3, first 2 shown]
	ds_bpermute_b32 v60, v63, v61
	ds_bpermute_b32 v133, v63, v161
	s_waitcnt lgkmcnt(2)
	v_add_f32_e32 v54, v54, v137
	v_cndmask_b32_e64 v137, -v162, v162, s19
	s_waitcnt lgkmcnt(0)
	s_delay_alu instid0(VALU_DEP_1)
	v_dual_add_f32 v136, v136, v133 :: v_dual_add_f32 v137, v137, v138
	v_add_f32_e32 v138, v40, v139
	v_cndmask_b32_e64 v40, -v41, v41, s19
	v_add_f32_e32 v128, v46, v128
	v_cndmask_b32_e64 v46, -v56, v56, s19
	v_add_f32_e32 v56, v47, v131
	ds_bpermute_b32 v47, v63, v157
	v_dual_add_f32 v139, v48, v140 :: v_dual_add_f32 v140, v57, v141
	v_add_f32_e32 v55, v46, v55
	ds_bpermute_b32 v46, v63, v41
	v_add_f32_e32 v141, v58, v142
	v_cndmask_b32_e64 v41, -v157, v157, s19
	ds_bpermute_b32 v48, v63, v64
	ds_bpermute_b32 v58, v63, v66
	v_add_f32_e32 v142, v59, v143
	v_lshrrev_b32_e32 v59, 3, v0
	ds_bpermute_b32 v57, v63, v65
	s_waitcnt lgkmcnt(4)
	v_add_f32_e32 v132, v41, v47
	v_cndmask_b32_e64 v41, -v62, v62, s19
	v_and_b32_e32 v47, 7, v0
	s_waitcnt lgkmcnt(3)
	v_add_f32_e32 v131, v40, v46
	v_cndmask_b32_e64 v40, -v61, v61, s19
	v_cndmask_b32_e64 v46, -v134, v134, s19
	v_add_f32_e32 v134, v41, v144
	v_lshl_or_b32 v41, v47, 5, v59
	v_cndmask_b32_e64 v59, -v65, v65, s19
	v_add_f32_e32 v133, v40, v60
	v_lshrrev_b32_e32 v40, 5, v0
	v_add_f32_e32 v61, v46, v145
	v_cndmask_b32_e64 v46, -v64, v64, s19
	v_cndmask_b32_e64 v60, -v66, v66, s19
	s_waitcnt lgkmcnt(0)
	v_add_f32_e32 v63, v59, v57
	v_xor_b32_e32 v0, v40, v0
	v_xor_b32_e32 v40, v41, v47
	v_add_f32_e32 v62, v46, v48
	v_add_f32_e32 v64, v60, v58
	s_delay_alu instid0(VALU_DEP_4) | instskip(NEXT) | instid1(VALU_DEP_4)
	v_lshl_add_u32 v60, v0, 4, 0
	v_lshl_add_u32 v48, v40, 4, 0
	ds_store_b128 v60, v[5:8]
	ds_store_b128 v60, v[1:4] offset:4096
	ds_store_b128 v60, v[9:12] offset:8192
	;; [unrolled: 1-line block ×7, first 2 shown]
	s_waitcnt lgkmcnt(0)
	s_barrier
	buffer_gl0_inv
	ds_load_b128 v[0:3], v48
	ds_load_b128 v[143:146], v48 offset:4096
	ds_load_b128 v[147:150], v48 offset:8192
	;; [unrolled: 1-line block ×7, first 2 shown]
	s_waitcnt lgkmcnt(0)
	s_barrier
	buffer_gl0_inv
	ds_store_b128 v60, v[33:36]
	ds_store_b128 v60, v[67:70] offset:4096
	ds_store_b128 v60, v[71:74] offset:8192
	ds_store_b128 v60, v[75:78] offset:12288
	ds_store_b128 v60, v[79:82] offset:16384
	ds_store_b128 v60, v[42:45] offset:20480
	ds_store_b128 v60, v[83:86] offset:24576
	ds_store_b128 v60, v[87:90] offset:28672
	s_waitcnt lgkmcnt(0)
	s_barrier
	buffer_gl0_inv
	ds_load_b128 v[65:68], v48
	ds_load_b128 v[69:72], v48 offset:4096
	ds_load_b128 v[73:76], v48 offset:8192
	;; [unrolled: 1-line block ×7, first 2 shown]
	s_waitcnt lgkmcnt(0)
	s_barrier
	buffer_gl0_inv
	ds_store_b128 v60, v[91:94]
	ds_store_b128 v60, v[95:98] offset:4096
	ds_store_b128 v60, v[99:102] offset:8192
	;; [unrolled: 1-line block ×7, first 2 shown]
	ds_bpermute_b32 v28, v37, v0
	ds_bpermute_b32 v29, v37, v1
	ds_bpermute_b32 v30, v37, v2
	ds_bpermute_b32 v40, v37, v144
	ds_bpermute_b32 v31, v37, v3
	ds_bpermute_b32 v42, v37, v146
	v_cndmask_b32_e64 v32, -v0, v0, s1
	ds_bpermute_b32 v36, v37, v143
	ds_bpermute_b32 v41, v37, v145
	ds_bpermute_b32 v43, v37, v147
	v_cndmask_b32_e64 v33, -v1, v1, s1
	v_cndmask_b32_e64 v34, -v2, v2, s1
	ds_bpermute_b32 v44, v37, v148
	ds_bpermute_b32 v45, v37, v149
	;; [unrolled: 1-line block ×4, first 2 shown]
	v_cndmask_b32_e64 v35, -v3, v3, s1
	ds_bpermute_b32 v46, v37, v150
	ds_bpermute_b32 v49, v37, v152
	s_waitcnt lgkmcnt(0)
	v_add_f32_e32 v92, v32, v28
	v_cndmask_b32_e64 v32, -v144, v144, s1
	s_barrier
	buffer_gl0_inv
	ds_load_b128 v[179:182], v48
	ds_load_b128 v[183:186], v48 offset:4096
	ds_load_b128 v[187:190], v48 offset:8192
	;; [unrolled: 1-line block ×7, first 2 shown]
	s_waitcnt lgkmcnt(0)
	v_add_f32_e32 v94, v32, v40
	v_cndmask_b32_e64 v40, -v151, v151, s1
	v_dual_add_f32 v28, v33, v29 :: v_dual_add_f32 v29, v34, v30
	v_cndmask_b32_e64 v34, -v146, v146, s1
	v_cndmask_b32_e64 v33, -v145, v145, s1
	s_barrier
	buffer_gl0_inv
	ds_bpermute_b32 v52, v37, v157
	v_add_f32_e32 v32, v34, v42
	ds_bpermute_b32 v42, v37, v153
	v_add_f32_e32 v30, v35, v31
	v_cndmask_b32_e64 v31, -v143, v143, s1
	v_cndmask_b32_e64 v35, -v147, v147, s1
	;; [unrolled: 1-line block ×3, first 2 shown]
	ds_bpermute_b32 v50, v37, v155
	ds_bpermute_b32 v57, v37, v166
	v_add_f32_e32 v93, v31, v36
	v_add_f32_e32 v31, v33, v41
	;; [unrolled: 1-line block ×3, first 2 shown]
	v_cndmask_b32_e64 v35, -v149, v149, s1
	ds_bpermute_b32 v43, v37, v154
	v_add_f32_e32 v95, v34, v44
	ds_store_b128 v60, v[119:122]
	ds_store_b128 v60, v[123:126] offset:4096
	ds_store_b128 v60, v[127:130] offset:8192
	;; [unrolled: 1-line block ×7, first 2 shown]
	ds_bpermute_b32 v53, v37, v160
	ds_bpermute_b32 v55, v37, v162
	v_dual_add_f32 v96, v35, v45 :: v_dual_add_f32 v35, v40, v47
	ds_bpermute_b32 v47, v37, v158
	v_cndmask_b32_e64 v36, -v150, v150, s1
	v_cndmask_b32_e64 v41, -v152, v152, s1
	;; [unrolled: 1-line block ×4, first 2 shown]
	ds_bpermute_b32 v54, v37, v161
	v_add_f32_e32 v34, v36, v46
	v_add_f32_e32 v36, v41, v49
	v_cndmask_b32_e64 v41, -v154, v154, s1
	v_cndmask_b32_e64 v46, -v157, v157, s1
	ds_bpermute_b32 v49, v37, v159
	s_waitcnt lgkmcnt(16)
	v_add_f32_e32 v97, v40, v42
	ds_bpermute_b32 v58, v37, v167
	s_waitcnt lgkmcnt(14)
	v_add_f32_e32 v98, v41, v43
	v_add_f32_e32 v41, v45, v51
	v_cndmask_b32_e64 v43, -v158, v158, s1
	v_cndmask_b32_e64 v45, -v160, v160, s1
	;; [unrolled: 1-line block ×3, first 2 shown]
	ds_bpermute_b32 v61, v37, v65
	ds_bpermute_b32 v51, v37, v163
	s_waitcnt lgkmcnt(5)
	v_add_f32_e32 v99, v43, v47
	v_add_f32_e32 v43, v45, v53
	v_cndmask_b32_e64 v53, -v167, v167, s1
	v_add_f32_e32 v42, v46, v52
	ds_bpermute_b32 v52, v37, v164
	v_add_f32_e32 v40, v44, v50
	v_cndmask_b32_e64 v50, -v162, v162, s1
	v_cndmask_b32_e64 v44, -v159, v159, s1
	;; [unrolled: 1-line block ×4, first 2 shown]
	ds_bpermute_b32 v56, v37, v165
	v_add_f32_e32 v45, v50, v55
	v_cndmask_b32_e64 v50, -v166, v166, s1
	ds_bpermute_b32 v59, v37, v170
	ds_bpermute_b32 v63, v37, v69
	s_waitcnt lgkmcnt(7)
	v_add_f32_e32 v100, v44, v49
	v_cndmask_b32_e64 v49, -v165, v165, s1
	ds_bpermute_b32 v55, v37, v169
	ds_bpermute_b32 v62, v37, v66
	ds_bpermute_b32 v64, v37, v70
	ds_bpermute_b32 v89, v37, v193
	ds_bpermute_b32 v90, v37, v196
	ds_bpermute_b32 v125, v37, v198
	ds_bpermute_b32 v140, v37, v20
	s_waitcnt lgkmcnt(10)
	v_dual_add_f32 v102, v47, v52 :: v_dual_add_f32 v47, v50, v57
	ds_bpermute_b32 v57, v37, v67
	v_add_f32_e32 v44, v46, v54
	ds_bpermute_b32 v54, v37, v168
	v_cndmask_b32_e64 v46, -v163, v163, s1
	v_cndmask_b32_e64 v50, -v168, v168, s1
	;; [unrolled: 1-line block ×3, first 2 shown]
	ds_bpermute_b32 v91, v37, v197
	ds_bpermute_b32 v128, v37, v202
	v_add_f32_e32 v101, v46, v51
	v_cndmask_b32_e64 v51, -v169, v169, s1
	s_waitcnt lgkmcnt(0)
	s_barrier
	buffer_gl0_inv
	ds_load_b128 v[129:132], v48
	ds_load_b128 v[133:136], v48 offset:4096
	ds_load_b128 v[24:27], v48 offset:8192
	;; [unrolled: 1-line block ×5, first 2 shown]
	v_add_f32_e32 v104, v51, v55
	v_cndmask_b32_e64 v55, -v69, v69, s1
	ds_bpermute_b32 v69, v37, v79
	ds_bpermute_b32 v127, v37, v201
	ds_bpermute_b32 v137, v37, v203
	ds_bpermute_b32 v141, v37, v21
	ds_bpermute_b32 v142, v37, v22
	v_cndmask_b32_e64 v22, -v22, v22, s1
	v_dual_add_f32 v103, v50, v54 :: v_dual_add_f32 v50, v52, v59
	v_cndmask_b32_e64 v59, -v71, v71, s1
	v_add_f32_e32 v46, v49, v56
	v_add_f32_e32 v49, v53, v58
	v_cndmask_b32_e64 v53, -v65, v65, s1
	ds_bpermute_b32 v65, v37, v71
	v_cndmask_b32_e64 v56, -v66, v66, s1
	ds_bpermute_b32 v58, v37, v68
	v_cndmask_b32_e64 v54, -v68, v68, s1
	v_add_f32_e32 v51, v53, v61
	v_cndmask_b32_e64 v53, -v67, v67, s1
	ds_bpermute_b32 v67, v37, v75
	ds_bpermute_b32 v61, v37, v72
	;; [unrolled: 1-line block ×4, first 2 shown]
	v_add_f32_e32 v105, v53, v57
	v_add_f32_e32 v53, v55, v63
	v_cndmask_b32_e64 v57, -v73, v73, s1
	ds_bpermute_b32 v71, v37, v81
	v_cndmask_b32_e64 v63, -v76, v76, s1
	ds_bpermute_b32 v76, v37, v172
	ds_bpermute_b32 v138, v37, v205
	;; [unrolled: 1-line block ×4, first 2 shown]
	s_waitcnt lgkmcnt(21)
	ds_bpermute_b32 v144, v37, v129
	s_waitcnt lgkmcnt(11)
	v_add_f32_e32 v55, v59, v65
	v_cndmask_b32_e64 v59, -v75, v75, s1
	v_add_f32_e32 v52, v56, v62
	ds_bpermute_b32 v62, v37, v73
	v_cndmask_b32_e64 v56, -v70, v70, s1
	ds_bpermute_b32 v65, v37, v78
	ds_bpermute_b32 v70, v37, v80
	ds_bpermute_b32 v73, v37, v85
	ds_bpermute_b32 v75, v37, v171
	ds_bpermute_b32 v146, v37, v131
	ds_bpermute_b32 v145, v37, v130
	v_cndmask_b32_e64 v23, -v23, v23, s1
	ds_load_b128 v[8:11], v48 offset:24576
	ds_load_b128 v[0:3], v48 offset:28672
	s_waitcnt lgkmcnt(0)
	s_barrier
	buffer_gl0_inv
	v_dual_add_f32 v108, v57, v62 :: v_dual_add_f32 v57, v59, v67
	ds_bpermute_b32 v67, v37, v82
	v_add_f32_e32 v106, v54, v58
	v_add_f32_e32 v54, v56, v64
	ds_bpermute_b32 v64, v37, v77
	v_cndmask_b32_e64 v56, -v72, v72, s1
	v_cndmask_b32_e64 v58, -v74, v74, s1
	ds_bpermute_b32 v72, v37, v84
	ds_bpermute_b32 v74, v37, v86
	v_cndmask_b32_e64 v59, -v77, v77, s1
	v_add_f32_e32 v107, v56, v61
	v_cndmask_b32_e64 v61, -v78, v78, s1
	v_cndmask_b32_e64 v62, -v79, v79, s1
	ds_bpermute_b32 v77, v37, v173
	ds_bpermute_b32 v78, v37, v176
	;; [unrolled: 1-line block ×3, first 2 shown]
	v_add_f32_e32 v110, v61, v65
	v_cndmask_b32_e64 v65, -v84, v84, s1
	v_add_f32_e32 v56, v58, v66
	v_cndmask_b32_e64 v66, -v81, v81, s1
	ds_bpermute_b32 v81, v37, v181
	ds_bpermute_b32 v84, v37, v186
	s_waitcnt lgkmcnt(7)
	v_add_f32_e32 v109, v59, v64
	v_add_f32_e32 v59, v62, v69
	v_cndmask_b32_e64 v69, -v86, v86, s1
	v_add_f32_e32 v58, v63, v68
	v_cndmask_b32_e64 v63, -v80, v80, s1
	ds_bpermute_b32 v68, v37, v83
	v_cndmask_b32_e64 v64, -v83, v83, s1
	ds_bpermute_b32 v80, v37, v178
	ds_bpermute_b32 v83, v37, v183
	v_add_f32_e32 v61, v63, v70
	v_cndmask_b32_e64 v63, -v82, v82, s1
	ds_bpermute_b32 v70, v37, v87
	ds_bpermute_b32 v82, v37, v182
	;; [unrolled: 1-line block ×3, first 2 shown]
	v_add_f32_e32 v111, v63, v67
	s_waitcnt lgkmcnt(12)
	v_add_f32_e32 v63, v65, v72
	s_waitcnt lgkmcnt(11)
	v_add_f32_e32 v65, v69, v74
	v_cndmask_b32_e64 v69, -v172, v172, s1
	v_add_f32_e32 v62, v66, v71
	ds_bpermute_b32 v71, v37, v88
	v_cndmask_b32_e64 v66, -v85, v85, s1
	v_cndmask_b32_e64 v67, -v88, v88, s1
	;; [unrolled: 1-line block ×3, first 2 shown]
	ds_bpermute_b32 v74, v37, v175
	ds_bpermute_b32 v85, v37, v187
	;; [unrolled: 1-line block ×3, first 2 shown]
	s_waitcnt lgkmcnt(3)
	v_dual_add_f32 v114, v67, v71 :: v_dual_add_f32 v67, v69, v76
	v_cndmask_b32_e64 v69, -v174, v174, s1
	v_add_f32_e32 v112, v64, v68
	v_cndmask_b32_e64 v68, -v171, v171, s1
	v_cndmask_b32_e64 v71, -v176, v176, s1
	v_add_f32_e32 v64, v66, v73
	v_cndmask_b32_e64 v66, -v87, v87, s1
	ds_bpermute_b32 v73, v37, v174
	ds_bpermute_b32 v76, v37, v179
	;; [unrolled: 1-line block ×3, first 2 shown]
	v_dual_add_f32 v113, v66, v70 :: v_dual_add_f32 v66, v68, v75
	v_add_f32_e32 v68, v72, v77
	ds_bpermute_b32 v77, v37, v180
	v_cndmask_b32_e64 v70, -v175, v175, s1
	v_cndmask_b32_e64 v72, -v177, v177, s1
	;; [unrolled: 1-line block ×3, first 2 shown]
	s_waitcnt lgkmcnt(3)
	v_add_f32_e32 v115, v69, v73
	v_cndmask_b32_e64 v73, -v180, v180, s1
	v_add_f32_e32 v69, v71, v78
	v_cndmask_b32_e64 v78, -v183, v183, s1
	v_add_f32_e32 v71, v75, v80
	ds_bpermute_b32 v80, v37, v185
	v_cndmask_b32_e64 v75, -v182, v182, s1
	s_waitcnt lgkmcnt(1)
	v_add_f32_e32 v118, v73, v77
	v_cndmask_b32_e64 v77, -v186, v186, s1
	v_add_f32_e32 v116, v70, v74
	v_add_f32_e32 v70, v72, v79
	v_cndmask_b32_e64 v72, -v179, v179, s1
	v_cndmask_b32_e64 v74, -v181, v181, s1
	ds_bpermute_b32 v79, v37, v184
	v_add_f32_e32 v73, v75, v82
	v_cndmask_b32_e64 v75, -v184, v184, s1
	v_dual_add_f32 v117, v72, v76 :: v_dual_add_f32 v72, v74, v81
	v_add_f32_e32 v74, v78, v83
	ds_bpermute_b32 v83, v37, v190
	v_cndmask_b32_e64 v81, -v188, v188, s1
	v_cndmask_b32_e64 v76, -v185, v185, s1
	;; [unrolled: 1-line block ×3, first 2 shown]
	ds_bpermute_b32 v82, v37, v189
	s_waitcnt lgkmcnt(2)
	v_add_f32_e32 v119, v75, v79
	v_add_f32_e32 v75, v77, v84
	v_add_f32_e32 v77, v81, v86
	v_cndmask_b32_e64 v79, -v190, v190, s1
	v_cndmask_b32_e64 v81, -v192, v192, s1
	;; [unrolled: 1-line block ×3, first 2 shown]
	ds_bpermute_b32 v86, v37, v195
	s_waitcnt lgkmcnt(2)
	v_dual_add_f32 v122, v79, v83 :: v_dual_add_f32 v79, v81, v88
	v_cndmask_b32_e64 v83, -v196, v196, s1
	v_add_f32_e32 v120, v76, v80
	ds_bpermute_b32 v88, v37, v199
	v_add_f32_e32 v76, v78, v85
	ds_bpermute_b32 v85, v37, v194
	v_cndmask_b32_e64 v78, -v189, v189, s1
	v_cndmask_b32_e64 v80, -v191, v191, s1
	;; [unrolled: 1-line block ×3, first 2 shown]
	s_waitcnt lgkmcnt(3)
	s_delay_alu instid0(VALU_DEP_2)
	v_dual_add_f32 v121, v78, v82 :: v_dual_add_f32 v78, v80, v87
	v_cndmask_b32_e64 v87, -v198, v198, s1
	v_cndmask_b32_e64 v82, -v195, v195, s1
	s_waitcnt lgkmcnt(0)
	v_add_f32_e32 v123, v81, v85
	v_add_f32_e32 v81, v83, v90
	;; [unrolled: 1-line block ×3, first 2 shown]
	v_cndmask_b32_e64 v87, -v202, v202, s1
	v_add_f32_e32 v80, v84, v89
	ds_bpermute_b32 v89, v37, v200
	v_cndmask_b32_e64 v84, -v197, v197, s1
	v_cndmask_b32_e64 v85, -v200, v200, s1
	;; [unrolled: 1-line block ×3, first 2 shown]
	s_waitcnt lgkmcnt(0)
	s_delay_alu instid0(VALU_DEP_2)
	v_dual_add_f32 v126, v85, v89 :: v_dual_add_f32 v85, v87, v128
	v_cndmask_b32_e64 v87, -v204, v204, s1
	v_add_f32_e32 v124, v82, v86
	v_add_f32_e32 v82, v84, v91
	ds_bpermute_b32 v91, v37, v204
	v_cndmask_b32_e64 v84, -v199, v199, s1
	v_cndmask_b32_e64 v86, -v201, v201, s1
	;; [unrolled: 1-line block ×3, first 2 shown]
	s_delay_alu instid0(VALU_DEP_2)
	v_dual_add_f32 v125, v84, v88 :: v_dual_add_f32 v84, v86, v127
	v_cndmask_b32_e64 v88, -v205, v205, s1
	s_waitcnt lgkmcnt(0)
	v_add_f32_e32 v127, v87, v91
	ds_bpermute_b32 v91, v37, v132
	v_add_f32_e32 v86, v90, v137
	v_cndmask_b32_e64 v90, -v20, v20, s1
	v_cndmask_b32_e64 v137, -v21, v21, s1
	v_add_f32_e32 v20, v89, v139
	v_cndmask_b32_e64 v89, -v130, v130, s1
	ds_bpermute_b32 v139, v37, v135
	v_add_f32_e32 v21, v90, v140
	v_cndmask_b32_e64 v90, -v131, v131, s1
	ds_bpermute_b32 v140, v37, v136
	v_add_f32_e32 v128, v88, v138
	v_cndmask_b32_e64 v88, -v129, v129, s1
	v_add_f32_e32 v87, v137, v141
	ds_bpermute_b32 v137, v37, v133
	ds_bpermute_b32 v138, v37, v134
	v_dual_add_f32 v129, v22, v142 :: v_dual_add_f32 v22, v88, v144
	ds_bpermute_b32 v141, v37, v25
	ds_bpermute_b32 v142, v37, v26
	;; [unrolled: 1-line block ×3, first 2 shown]
	v_add_f32_e32 v88, v90, v146
	v_cndmask_b32_e64 v90, -v133, v133, s1
	v_cndmask_b32_e64 v133, -v134, v134, s1
	v_add_f32_e32 v130, v23, v143
	v_cndmask_b32_e64 v134, -v135, v135, s1
	v_cndmask_b32_e64 v135, -v136, v136, s1
	ds_bpermute_b32 v136, v37, v24
	ds_bpermute_b32 v143, v37, v27
	v_add_f32_e32 v23, v89, v145
	v_cndmask_b32_e64 v89, -v132, v132, s1
	v_cndmask_b32_e64 v24, -v24, v24, s1
	v_cndmask_b32_e64 v25, -v25, v25, s1
	v_cndmask_b32_e64 v26, -v26, v26, s1
	v_cndmask_b32_e64 v27, -v27, v27, s1
	s_waitcnt lgkmcnt(9)
	v_add_f32_e32 v131, v89, v91
	s_waitcnt lgkmcnt(5)
	v_dual_add_f32 v89, v133, v138 :: v_dual_add_f32 v132, v90, v137
	v_add_f32_e32 v91, v135, v140
	v_cndmask_b32_e64 v135, -v16, v16, s1
	ds_bpermute_b32 v137, v37, v17
	ds_bpermute_b32 v140, v37, v12
	;; [unrolled: 1-line block ×3, first 2 shown]
	s_waitcnt lgkmcnt(6)
	v_add_f32_e32 v16, v26, v142
	v_cndmask_b32_e64 v26, -v12, v12, s1
	ds_bpermute_b32 v138, v37, v18
	v_cndmask_b32_e64 v17, -v17, v17, s1
	s_waitcnt lgkmcnt(4)
	v_dual_add_f32 v133, v24, v136 :: v_dual_add_f32 v24, v27, v143
	v_cndmask_b32_e64 v27, -v13, v13, s1
	v_add_f32_e32 v90, v134, v139
	ds_bpermute_b32 v139, v37, v19
	v_add_f32_e32 v134, v25, v141
	ds_bpermute_b32 v141, v37, v14
	v_cndmask_b32_e64 v19, -v19, v19, s1
	v_cndmask_b32_e64 v14, -v14, v14, s1
	v_add_f32_e32 v25, v135, v144
	ds_bpermute_b32 v142, v37, v15
	ds_bpermute_b32 v143, v37, v4
	;; [unrolled: 1-line block ×3, first 2 shown]
	s_waitcnt lgkmcnt(8)
	v_add_f32_e32 v135, v17, v137
	s_waitcnt lgkmcnt(7)
	v_add_f32_e32 v13, v26, v140
	;; [unrolled: 2-line block ×3, first 2 shown]
	ds_bpermute_b32 v26, v37, v9
	ds_bpermute_b32 v27, v37, v10
	v_cndmask_b32_e64 v9, -v9, v9, s1
	v_cndmask_b32_e64 v18, -v18, v18, s1
	ds_bpermute_b32 v145, v37, v11
	v_cndmask_b32_e64 v15, -v15, v15, s1
	v_cndmask_b32_e64 v4, -v4, v4, s1
	;; [unrolled: 1-line block ×3, first 2 shown]
	s_waitcnt lgkmcnt(7)
	v_add_f32_e32 v12, v19, v139
	ds_bpermute_b32 v19, v37, v8
	s_waitcnt lgkmcnt(7)
	v_add_f32_e32 v137, v14, v141
	ds_bpermute_b32 v14, v37, v0
	v_add_f32_e32 v136, v18, v138
	ds_bpermute_b32 v18, v37, v7
	v_cndmask_b32_e64 v8, -v8, v8, s1
	v_cndmask_b32_e64 v10, -v10, v10, s1
	;; [unrolled: 1-line block ×3, first 2 shown]
	ds_bpermute_b32 v146, v37, v6
	s_waitcnt lgkmcnt(7)
	v_add_f32_e32 v5, v5, v144
	v_cndmask_b32_e64 v7, -v7, v7, s1
	v_add_f32_e32 v4, v4, v143
	ds_bpermute_b32 v143, v37, v2
	ds_bpermute_b32 v144, v38, v92
	v_cndmask_b32_e64 v11, -v11, v11, s1
	v_cndmask_b32_e64 v2, -v2, v2, s1
	;; [unrolled: 1-line block ×3, first 2 shown]
	s_waitcnt lgkmcnt(5)
	v_add_f32_e32 v140, v8, v19
	s_waitcnt lgkmcnt(4)
	v_dual_add_f32 v8, v10, v27 :: v_dual_add_f32 v141, v0, v14
	ds_bpermute_b32 v19, v38, v30
	v_cndmask_b32_e64 v14, -v30, v30, s17
	v_add_f32_e32 v138, v15, v142
	ds_bpermute_b32 v15, v37, v1
	ds_bpermute_b32 v37, v37, v3
	s_waitcnt lgkmcnt(6)
	v_add_f32_e32 v139, v7, v18
	v_add_f32_e32 v7, v9, v26
	;; [unrolled: 1-line block ×3, first 2 shown]
	ds_bpermute_b32 v11, v38, v28
	ds_bpermute_b32 v18, v38, v29
	;; [unrolled: 1-line block ×3, first 2 shown]
	v_cndmask_b32_e64 v1, -v1, v1, s1
	v_cndmask_b32_e64 v3, -v3, v3, s1
	;; [unrolled: 1-line block ×3, first 2 shown]
	ds_bpermute_b32 v26, v38, v93
	s_waitcnt lgkmcnt(8)
	v_add_f32_e32 v0, v2, v143
	ds_bpermute_b32 v92, v38, v95
	ds_bpermute_b32 v30, v38, v32
	s_waitcnt lgkmcnt(6)
	v_dual_add_f32 v142, v1, v15 :: v_dual_add_f32 v1, v3, v37
	v_cndmask_b32_e64 v3, -v28, v28, s17
	v_cndmask_b32_e64 v28, -v94, v94, s17
	v_add_f32_e32 v2, v10, v144
	v_cndmask_b32_e64 v10, -v29, v29, s17
	ds_bpermute_b32 v29, v38, v31
	v_cndmask_b32_e64 v15, -v93, v93, s17
	ds_bpermute_b32 v37, v38, v33
	ds_bpermute_b32 v93, v38, v96
	s_waitcnt lgkmcnt(8)
	v_dual_add_f32 v6, v6, v146 :: v_dual_add_f32 v143, v3, v11
	s_waitcnt lgkmcnt(6)
	v_add_f32_e32 v11, v28, v27
	ds_bpermute_b32 v27, v38, v34
	v_add_f32_e32 v144, v10, v18
	v_cndmask_b32_e64 v18, -v33, v33, s17
	ds_bpermute_b32 v33, v38, v98
	v_add_f32_e32 v3, v14, v19
	v_cndmask_b32_e64 v14, -v31, v31, s17
	ds_bpermute_b32 v28, v38, v35
	v_cndmask_b32_e64 v19, -v95, v95, s17
	ds_bpermute_b32 v31, v38, v36
	ds_bpermute_b32 v94, v38, v102
	;; [unrolled: 1-line block ×3, first 2 shown]
	s_waitcnt lgkmcnt(8)
	v_add_f32_e32 v145, v14, v29
	v_cndmask_b32_e64 v29, -v36, v36, s17
	v_add_f32_e32 v10, v15, v26
	v_cndmask_b32_e64 v15, -v32, v32, s17
	v_cndmask_b32_e64 v26, -v96, v96, s17
	ds_bpermute_b32 v32, v38, v97
	s_waitcnt lgkmcnt(8)
	v_add_f32_e32 v14, v18, v37
	ds_bpermute_b32 v36, v38, v41
	v_add_f32_e32 v146, v15, v30
	s_waitcnt lgkmcnt(8)
	v_dual_add_f32 v15, v19, v92 :: v_dual_add_f32 v18, v26, v93
	v_cndmask_b32_e64 v19, -v34, v34, s17
	v_cndmask_b32_e64 v26, -v35, v35, s17
	v_cndmask_b32_e64 v34, -v98, v98, s17
	ds_bpermute_b32 v35, v38, v40
	ds_bpermute_b32 v37, v38, v42
	;; [unrolled: 1-line block ×3, first 2 shown]
	s_waitcnt lgkmcnt(10)
	v_add_f32_e32 v147, v19, v27
	s_waitcnt lgkmcnt(9)
	v_add_f32_e32 v27, v34, v33
	ds_bpermute_b32 v33, v38, v43
	ds_bpermute_b32 v93, v38, v100
	s_waitcnt lgkmcnt(10)
	v_add_f32_e32 v148, v26, v28
	v_cndmask_b32_e64 v28, -v40, v40, s17
	ds_bpermute_b32 v40, v38, v44
	v_cndmask_b32_e64 v30, -v97, v97, s17
	s_waitcnt lgkmcnt(10)
	v_add_f32_e32 v19, v29, v31
	v_cndmask_b32_e64 v29, -v41, v41, s17
	ds_bpermute_b32 v41, v38, v45
	v_cndmask_b32_e64 v31, -v99, v99, s17
	ds_bpermute_b32 v96, v38, v136
	s_waitcnt lgkmcnt(7)
	v_add_f32_e32 v149, v28, v35
	v_cndmask_b32_e64 v28, -v43, v43, s17
	ds_bpermute_b32 v43, v38, v46
	v_add_f32_e32 v26, v30, v32
	v_cndmask_b32_e64 v30, -v42, v42, s17
	ds_bpermute_b32 v42, v38, v101
	v_cndmask_b32_e64 v32, -v100, v100, s17
	s_waitcnt lgkmcnt(7)
	v_add_f32_e32 v35, v31, v92
	v_cndmask_b32_e64 v31, -v101, v101, s17
	ds_bpermute_b32 v92, v38, v103
	v_add_f32_e32 v34, v30, v37
	v_cndmask_b32_e64 v30, -v45, v45, s17
	v_add_f32_e32 v150, v29, v36
	v_cndmask_b32_e64 v29, -v44, v44, s17
	ds_bpermute_b32 v45, v38, v49
	s_waitcnt lgkmcnt(8)
	v_add_f32_e32 v101, v28, v33
	s_waitcnt lgkmcnt(5)
	v_add_f32_e32 v37, v30, v41
	ds_bpermute_b32 v33, v38, v50
	v_add_f32_e32 v36, v32, v93
	v_cndmask_b32_e64 v32, -v102, v102, s17
	ds_bpermute_b32 v44, v38, v47
	ds_bpermute_b32 v93, v38, v104
	v_add_f32_e32 v102, v29, v40
	v_cndmask_b32_e64 v29, -v47, v47, s17
	ds_bpermute_b32 v47, v38, v52
	v_add_f32_e32 v41, v32, v94
	v_cndmask_b32_e64 v28, -v46, v46, s17
	ds_bpermute_b32 v46, v38, v51
	ds_bpermute_b32 v94, v38, v106
	s_waitcnt lgkmcnt(8)
	v_add_f32_e32 v40, v31, v42
	v_cndmask_b32_e64 v30, -v49, v49, s17
	v_cndmask_b32_e64 v31, -v103, v103, s17
	v_add_f32_e32 v103, v28, v43
	v_cndmask_b32_e64 v28, -v50, v50, s17
	v_cndmask_b32_e64 v32, -v104, v104, s17
	ds_bpermute_b32 v49, v38, v105
	s_waitcnt lgkmcnt(8)
	v_add_f32_e32 v43, v31, v92
	v_cndmask_b32_e64 v31, -v105, v105, s17
	ds_bpermute_b32 v50, v38, v53
	s_waitcnt lgkmcnt(7)
	v_add_f32_e32 v105, v28, v33
	v_cndmask_b32_e64 v28, -v53, v53, s17
	v_add_f32_e32 v42, v30, v45
	v_cndmask_b32_e64 v30, -v52, v52, s17
	s_waitcnt lgkmcnt(6)
	v_add_f32_e32 v104, v29, v44
	v_cndmask_b32_e64 v29, -v51, v51, s17
	ds_bpermute_b32 v52, v38, v55
	ds_bpermute_b32 v51, v38, v54
	s_waitcnt lgkmcnt(6)
	v_add_f32_e32 v45, v30, v47
	v_cndmask_b32_e64 v30, -v55, v55, s17
	ds_bpermute_b32 v55, v38, v109
	v_add_f32_e32 v44, v32, v93
	v_cndmask_b32_e64 v32, -v106, v106, s17
	ds_bpermute_b32 v92, v38, v107
	ds_bpermute_b32 v93, v38, v108
	;; [unrolled: 1-line block ×4, first 2 shown]
	s_waitcnt lgkmcnt(9)
	v_add_f32_e32 v47, v32, v94
	v_cndmask_b32_e64 v32, -v108, v108, s17
	v_add_f32_e32 v106, v29, v46
	v_cndmask_b32_e64 v29, -v54, v54, s17
	ds_bpermute_b32 v54, v38, v58
	s_waitcnt lgkmcnt(9)
	v_add_f32_e32 v46, v31, v49
	v_cndmask_b32_e64 v31, -v107, v107, s17
	ds_bpermute_b32 v94, v38, v110
	s_waitcnt lgkmcnt(9)
	v_add_f32_e32 v107, v28, v50
	s_waitcnt lgkmcnt(8)
	v_add_f32_e32 v49, v30, v52
	v_cndmask_b32_e64 v30, -v58, v58, s17
	v_cndmask_b32_e64 v28, -v56, v56, s17
	s_waitcnt lgkmcnt(7)
	v_add_f32_e32 v108, v29, v51
	ds_bpermute_b32 v56, v38, v59
	ds_bpermute_b32 v58, v38, v62
	v_cndmask_b32_e64 v29, -v57, v57, s17
	ds_bpermute_b32 v57, v38, v61
	s_waitcnt lgkmcnt(7)
	v_add_f32_e32 v51, v32, v93
	ds_bpermute_b32 v93, v38, v112
	v_cndmask_b32_e64 v32, -v110, v110, s17
	s_waitcnt lgkmcnt(5)
	v_add_f32_e32 v52, v30, v54
	v_cndmask_b32_e64 v30, -v62, v62, s17
	v_add_f32_e32 v50, v31, v92
	ds_bpermute_b32 v92, v38, v111
	v_cndmask_b32_e64 v31, -v109, v109, s17
	v_add_f32_e32 v109, v28, v33
	v_cndmask_b32_e64 v28, -v59, v59, s17
	ds_bpermute_b32 v62, v38, v113
	v_dual_add_f32 v110, v29, v53 :: v_dual_add_f32 v53, v31, v55
	v_cndmask_b32_e64 v31, -v111, v111, s17
	v_cndmask_b32_e64 v29, -v61, v61, s17
	ds_bpermute_b32 v33, v38, v63
	ds_bpermute_b32 v59, v38, v64
	;; [unrolled: 1-line block ×3, first 2 shown]
	s_waitcnt lgkmcnt(8)
	v_add_f32_e32 v111, v28, v56
	v_cndmask_b32_e64 v28, -v63, v63, s17
	ds_bpermute_b32 v63, v38, v66
	s_waitcnt lgkmcnt(8)
	v_add_f32_e32 v55, v30, v58
	v_cndmask_b32_e64 v30, -v65, v65, s17
	ds_bpermute_b32 v65, v38, v68
	s_waitcnt lgkmcnt(6)
	v_add_f32_e32 v56, v31, v92
	ds_bpermute_b32 v92, v38, v115
	v_add_f32_e32 v54, v32, v94
	ds_bpermute_b32 v94, v38, v114
	v_cndmask_b32_e64 v32, -v112, v112, s17
	v_add_f32_e32 v112, v29, v57
	v_cndmask_b32_e64 v29, -v64, v64, s17
	ds_bpermute_b32 v64, v38, v67
	v_cndmask_b32_e64 v31, -v113, v113, s17
	v_add_f32_e32 v57, v32, v93
	v_cndmask_b32_e64 v32, -v114, v114, s17
	ds_bpermute_b32 v93, v38, v116
	s_waitcnt lgkmcnt(8)
	v_add_f32_e32 v113, v28, v33
	v_cndmask_b32_e64 v28, -v66, v66, s17
	s_waitcnt lgkmcnt(6)
	v_add_f32_e32 v58, v30, v61
	ds_bpermute_b32 v33, v38, v69
	v_add_f32_e32 v114, v29, v59
	v_cndmask_b32_e64 v29, -v67, v67, s17
	ds_bpermute_b32 v66, v38, v70
	ds_bpermute_b32 v67, v38, v71
	v_add_f32_e32 v59, v31, v62
	v_cndmask_b32_e64 v30, -v68, v68, s17
	v_cndmask_b32_e64 v31, -v115, v115, s17
	s_waitcnt lgkmcnt(5)
	v_add_f32_e32 v61, v32, v94
	ds_bpermute_b32 v94, v38, v118
	ds_bpermute_b32 v68, v38, v117
	v_cndmask_b32_e64 v32, -v116, v116, s17
	v_add_f32_e32 v115, v28, v63
	v_add_f32_e32 v63, v31, v92
	v_cndmask_b32_e64 v28, -v69, v69, s17
	ds_bpermute_b32 v69, v38, v72
	ds_bpermute_b32 v92, v38, v119
	v_add_f32_e32 v62, v30, v65
	v_cndmask_b32_e64 v30, -v71, v71, s17
	s_waitcnt lgkmcnt(8)
	v_add_f32_e32 v116, v29, v64
	s_waitcnt lgkmcnt(7)
	v_add_f32_e32 v64, v32, v93
	v_cndmask_b32_e64 v29, -v70, v70, s17
	v_cndmask_b32_e64 v32, -v118, v118, s17
	ds_bpermute_b32 v70, v38, v73
	ds_bpermute_b32 v71, v38, v74
	;; [unrolled: 1-line block ×3, first 2 shown]
	v_cndmask_b32_e64 v31, -v117, v117, s17
	s_waitcnt lgkmcnt(9)
	v_add_f32_e32 v117, v28, v33
	s_waitcnt lgkmcnt(7)
	v_add_f32_e32 v65, v30, v67
	;; [unrolled: 2-line block ×3, first 2 shown]
	v_cndmask_b32_e64 v28, -v72, v72, s17
	v_add_f32_e32 v118, v29, v66
	v_cndmask_b32_e64 v29, -v73, v73, s17
	ds_bpermute_b32 v33, v38, v75
	ds_bpermute_b32 v72, v38, v76
	;; [unrolled: 1-line block ×4, first 2 shown]
	s_waitcnt lgkmcnt(9)
	v_add_f32_e32 v66, v31, v68
	v_cndmask_b32_e64 v30, -v74, v74, s17
	v_cndmask_b32_e64 v31, -v119, v119, s17
	ds_bpermute_b32 v74, v38, v121
	v_cndmask_b32_e64 v32, -v120, v120, s17
	s_waitcnt lgkmcnt(9)
	v_add_f32_e32 v119, v28, v69
	v_cndmask_b32_e64 v28, -v75, v75, s17
	s_waitcnt lgkmcnt(8)
	v_add_f32_e32 v69, v31, v92
	ds_bpermute_b32 v75, v38, v78
	ds_bpermute_b32 v92, v38, v123
	s_waitcnt lgkmcnt(8)
	v_add_f32_e32 v68, v30, v71
	v_cndmask_b32_e64 v30, -v77, v77, s17
	v_add_f32_e32 v120, v29, v70
	s_waitcnt lgkmcnt(7)
	v_add_f32_e32 v70, v32, v93
	v_cndmask_b32_e64 v29, -v76, v76, s17
	v_cndmask_b32_e64 v32, -v122, v122, s17
	ds_bpermute_b32 v76, v38, v79
	ds_bpermute_b32 v77, v38, v80
	;; [unrolled: 1-line block ×3, first 2 shown]
	v_cndmask_b32_e64 v31, -v121, v121, s17
	s_waitcnt lgkmcnt(9)
	v_add_f32_e32 v121, v28, v33
	s_waitcnt lgkmcnt(7)
	v_add_f32_e32 v71, v30, v73
	;; [unrolled: 2-line block ×3, first 2 shown]
	v_cndmask_b32_e64 v28, -v78, v78, s17
	v_add_f32_e32 v122, v29, v72
	v_cndmask_b32_e64 v29, -v79, v79, s17
	ds_bpermute_b32 v33, v38, v81
	ds_bpermute_b32 v78, v38, v82
	;; [unrolled: 1-line block ×4, first 2 shown]
	s_waitcnt lgkmcnt(9)
	v_add_f32_e32 v72, v31, v74
	v_cndmask_b32_e64 v30, -v80, v80, s17
	v_cndmask_b32_e64 v31, -v123, v123, s17
	ds_bpermute_b32 v80, v38, v125
	v_cndmask_b32_e64 v32, -v124, v124, s17
	s_waitcnt lgkmcnt(9)
	v_add_f32_e32 v123, v28, v75
	v_cndmask_b32_e64 v28, -v81, v81, s17
	s_waitcnt lgkmcnt(8)
	v_add_f32_e32 v75, v31, v92
	ds_bpermute_b32 v81, v38, v84
	ds_bpermute_b32 v92, v38, v127
	s_waitcnt lgkmcnt(8)
	v_add_f32_e32 v74, v30, v77
	v_cndmask_b32_e64 v30, -v83, v83, s17
	v_add_f32_e32 v124, v29, v76
	s_waitcnt lgkmcnt(7)
	v_add_f32_e32 v76, v32, v93
	v_cndmask_b32_e64 v29, -v82, v82, s17
	v_cndmask_b32_e64 v32, -v126, v126, s17
	ds_bpermute_b32 v82, v38, v85
	ds_bpermute_b32 v83, v38, v86
	;; [unrolled: 1-line block ×3, first 2 shown]
	v_cndmask_b32_e64 v31, -v125, v125, s17
	s_waitcnt lgkmcnt(9)
	v_add_f32_e32 v125, v28, v33
	s_waitcnt lgkmcnt(7)
	v_add_f32_e32 v77, v30, v79
	;; [unrolled: 2-line block ×3, first 2 shown]
	v_cndmask_b32_e64 v28, -v84, v84, s17
	v_add_f32_e32 v126, v29, v78
	v_cndmask_b32_e64 v29, -v85, v85, s17
	ds_bpermute_b32 v85, v38, v87
	ds_bpermute_b32 v94, v38, v130
	;; [unrolled: 1-line block ×3, first 2 shown]
	v_cndmask_b32_e64 v20, -v20, v20, s17
	s_waitcnt lgkmcnt(8)
	v_add_f32_e32 v78, v31, v80
	v_cndmask_b32_e64 v31, -v127, v127, s17
	v_cndmask_b32_e64 v30, -v86, v86, s17
	;; [unrolled: 1-line block ×3, first 2 shown]
	ds_bpermute_b32 v84, v38, v21
	ds_bpermute_b32 v86, v38, v129
	s_waitcnt lgkmcnt(9)
	v_add_f32_e32 v127, v28, v81
	s_waitcnt lgkmcnt(8)
	v_add_f32_e32 v81, v31, v92
	ds_bpermute_b32 v31, v38, v22
	v_cndmask_b32_e64 v28, -v87, v87, s17
	s_waitcnt lgkmcnt(8)
	v_add_f32_e32 v128, v29, v82
	ds_bpermute_b32 v87, v38, v88
	ds_bpermute_b32 v92, v38, v131
	s_waitcnt lgkmcnt(9)
	v_add_f32_e32 v80, v30, v83
	v_cndmask_b32_e64 v30, -v130, v130, s17
	s_waitcnt lgkmcnt(8)
	v_add_f32_e32 v82, v32, v93
	ds_bpermute_b32 v32, v38, v23
	ds_bpermute_b32 v93, v38, v132
	s_waitcnt lgkmcnt(9)
	v_add_f32_e32 v83, v28, v85
	s_waitcnt lgkmcnt(8)
	v_add_f32_e32 v85, v30, v94
	ds_bpermute_b32 v30, v38, v90
	v_cndmask_b32_e64 v21, -v21, v21, s17
	v_cndmask_b32_e64 v29, -v129, v129, s17
	s_waitcnt lgkmcnt(8)
	v_add_f32_e32 v129, v20, v33
	v_cndmask_b32_e64 v20, -v22, v22, s17
	v_cndmask_b32_e64 v22, -v88, v88, s17
	s_waitcnt lgkmcnt(7)
	v_add_f32_e32 v130, v21, v84
	v_cndmask_b32_e64 v21, -v23, v23, s17
	v_cndmask_b32_e64 v23, -v131, v131, s17
	s_waitcnt lgkmcnt(5)
	v_add_f32_e32 v131, v20, v31
	v_cndmask_b32_e64 v28, -v132, v132, s17
	ds_bpermute_b32 v94, v38, v133
	v_cndmask_b32_e64 v20, -v89, v89, s17
	v_add_f32_e32 v84, v29, v86
	ds_bpermute_b32 v29, v38, v89
	ds_bpermute_b32 v33, v38, v91
	s_waitcnt lgkmcnt(6)
	v_dual_add_f32 v86, v22, v87 :: v_dual_add_f32 v87, v23, v92
	s_waitcnt lgkmcnt(4)
	v_add_f32_e32 v88, v28, v93
	v_cndmask_b32_e64 v22, -v91, v91, s17
	v_add_f32_e32 v132, v21, v32
	v_cndmask_b32_e64 v21, -v90, v90, s17
	v_cndmask_b32_e64 v28, -v134, v134, s17
	ds_bpermute_b32 v31, v38, v16
	ds_bpermute_b32 v32, v38, v24
	;; [unrolled: 1-line block ×3, first 2 shown]
	s_waitcnt lgkmcnt(6)
	v_dual_add_f32 v134, v21, v30 :: v_dual_add_f32 v91, v28, v95
	v_cndmask_b32_e64 v21, -v25, v25, s17
	ds_bpermute_b32 v25, v38, v13
	ds_bpermute_b32 v28, v38, v17
	;; [unrolled: 1-line block ×3, first 2 shown]
	v_cndmask_b32_e64 v23, -v133, v133, s17
	v_cndmask_b32_e64 v16, -v16, v16, s17
	s_waitcnt lgkmcnt(7)
	v_add_f32_e32 v133, v20, v29
	v_cndmask_b32_e64 v20, -v24, v24, s17
	ds_bpermute_b32 v93, v38, v135
	v_add_f32_e32 v90, v23, v94
	v_cndmask_b32_e64 v23, -v136, v136, s17
	s_waitcnt lgkmcnt(7)
	v_add_f32_e32 v89, v22, v33
	v_cndmask_b32_e64 v22, -v135, v135, s17
	ds_bpermute_b32 v24, v38, v12
	v_cndmask_b32_e64 v13, -v13, v13, s17
	s_waitcnt lgkmcnt(7)
	v_add_f32_e32 v135, v16, v31
	s_waitcnt lgkmcnt(6)
	v_add_f32_e32 v136, v20, v32
	v_cndmask_b32_e64 v16, -v17, v17, s17
	v_cndmask_b32_e64 v20, -v138, v138, s17
	s_waitcnt lgkmcnt(5)
	v_add_f32_e32 v92, v21, v92
	ds_bpermute_b32 v21, v38, v4
	v_cndmask_b32_e64 v4, -v4, v4, s17
	v_add_f32_e32 v94, v23, v96
	ds_bpermute_b32 v23, v38, v6
	ds_bpermute_b32 v29, v38, v137
	;; [unrolled: 1-line block ×4, first 2 shown]
	s_waitcnt lgkmcnt(8)
	v_dual_add_f32 v138, v13, v25 :: v_dual_add_f32 v95, v16, v28
	s_waitcnt lgkmcnt(7)
	v_add_f32_e32 v97, v20, v30
	ds_bpermute_b32 v16, v38, v7
	ds_bpermute_b32 v20, v38, v9
	v_cndmask_b32_e64 v12, -v12, v12, s17
	v_cndmask_b32_e64 v6, -v6, v6, s17
	s_waitcnt lgkmcnt(8)
	v_add_f32_e32 v93, v22, v93
	v_cndmask_b32_e64 v17, -v137, v137, s17
	ds_bpermute_b32 v22, v38, v5
	s_waitcnt lgkmcnt(8)
	v_add_f32_e32 v137, v12, v24
	v_cndmask_b32_e64 v12, -v139, v139, s17
	v_cndmask_b32_e64 v13, -v140, v140, s17
	s_waitcnt lgkmcnt(7)
	v_add_f32_e32 v139, v4, v21
	v_cndmask_b32_e64 v4, -v7, v7, s17
	ds_bpermute_b32 v24, v38, v141
	s_waitcnt lgkmcnt(7)
	v_add_f32_e32 v28, v6, v23
	v_cndmask_b32_e64 v6, -v9, v9, s17
	s_waitcnt lgkmcnt(5)
	v_dual_add_f32 v96, v17, v29 :: v_dual_add_f32 v29, v12, v31
	ds_bpermute_b32 v17, v38, v8
	ds_bpermute_b32 v25, v38, v142
	;; [unrolled: 1-line block ×5, first 2 shown]
	s_waitcnt lgkmcnt(7)
	v_add_f32_e32 v31, v6, v20
	ds_bpermute_b32 v6, v39, v3
	v_cndmask_b32_e64 v3, -v3, v3, s18
	v_add_f32_e32 v38, v4, v16
	v_cndmask_b32_e64 v4, -v143, v143, s18
	v_add_f32_e32 v30, v13, v32
	ds_bpermute_b32 v13, v39, v2
	v_cndmask_b32_e64 v5, -v5, v5, s17
	v_cndmask_b32_e64 v7, -v141, v141, s17
	;; [unrolled: 1-line block ×4, first 2 shown]
	ds_bpermute_b32 v16, v39, v145
	s_waitcnt lgkmcnt(9)
	v_add_f32_e32 v140, v5, v22
	v_cndmask_b32_e64 v5, -v8, v8, s17
	v_cndmask_b32_e64 v8, -v142, v142, s17
	ds_bpermute_b32 v22, v39, v144
	ds_bpermute_b32 v23, v39, v27
	s_waitcnt lgkmcnt(7)
	v_add_f32_e32 v99, v0, v9
	v_add_f32_e32 v98, v5, v17
	;; [unrolled: 1-line block ×3, first 2 shown]
	ds_bpermute_b32 v8, v39, v11
	ds_bpermute_b32 v17, v39, v146
	v_add_f32_e32 v32, v7, v24
	ds_bpermute_b32 v7, v39, v10
	v_cndmask_b32_e64 v1, -v1, v1, s17
	v_cndmask_b32_e64 v9, -v145, v145, s18
	s_waitcnt lgkmcnt(6)
	v_add_f32_e32 v0, v2, v13
	ds_bpermute_b32 v13, v39, v15
	v_cndmask_b32_e64 v5, -v144, v144, s18
	v_add_f32_e32 v3, v3, v6
	ds_bpermute_b32 v25, v39, v150
	s_waitcnt lgkmcnt(7)
	v_add_f32_e32 v6, v9, v16
	v_cndmask_b32_e64 v9, -v15, v15, s18
	v_cndmask_b32_e64 v15, -v147, v147, s18
	v_dual_add_f32 v100, v1, v12 :: v_dual_add_f32 v1, v4, v21
	v_cndmask_b32_e64 v4, -v10, v10, s18
	v_cndmask_b32_e64 v10, -v146, v146, s18
	ds_bpermute_b32 v20, v39, v18
	ds_bpermute_b32 v21, v39, v147
	;; [unrolled: 1-line block ×3, first 2 shown]
	v_cndmask_b32_e64 v16, -v148, v148, s18
	ds_bpermute_b32 v141, v39, v114
	s_waitcnt lgkmcnt(6)
	v_dual_add_f32 v4, v4, v7 :: v_dual_add_f32 v7, v10, v17
	ds_bpermute_b32 v17, v39, v19
	v_cndmask_b32_e64 v10, -v18, v18, s18
	s_waitcnt lgkmcnt(6)
	v_add_f32_e32 v13, v9, v13
	v_cndmask_b32_e64 v9, -v19, v19, s18
	v_cndmask_b32_e64 v19, -v150, v150, s18
	v_add_f32_e32 v2, v5, v22
	v_cndmask_b32_e64 v5, -v11, v11, s18
	ds_bpermute_b32 v11, v39, v14
	ds_bpermute_b32 v22, v39, v148
	;; [unrolled: 1-line block ×4, first 2 shown]
	v_add_f32_e32 v5, v5, v8
	v_cndmask_b32_e64 v8, -v14, v14, s18
	ds_bpermute_b32 v143, v39, v119
	s_waitcnt lgkmcnt(8)
	v_add_f32_e32 v15, v15, v21
	ds_bpermute_b32 v21, v39, v35
	ds_bpermute_b32 v146, v39, v122
	;; [unrolled: 1-line block ×4, first 2 shown]
	s_waitcnt lgkmcnt(9)
	v_add_f32_e32 v9, v9, v17
	v_add_f32_e32 v17, v19, v25
	v_cndmask_b32_e64 v19, -v35, v35, s18
	ds_bpermute_b32 v35, v39, v40
	v_cndmask_b32_e64 v25, -v102, v102, s18
	s_waitcnt lgkmcnt(9)
	v_add_f32_e32 v12, v8, v11
	s_waitcnt lgkmcnt(8)
	v_add_f32_e32 v8, v16, v22
	v_cndmask_b32_e64 v16, -v149, v149, s18
	v_cndmask_b32_e64 v11, -v27, v27, s18
	ds_bpermute_b32 v22, v39, v36
	ds_bpermute_b32 v27, v39, v102
	;; [unrolled: 1-line block ×3, first 2 shown]
	v_add_f32_e32 v16, v16, v24
	v_cndmask_b32_e64 v24, -v101, v101, s18
	v_add_f32_e32 v14, v10, v20
	v_cndmask_b32_e64 v10, -v26, v26, s18
	ds_bpermute_b32 v26, v39, v101
	ds_bpermute_b32 v20, v39, v34
	s_waitcnt lgkmcnt(9)
	v_add_f32_e32 v19, v19, v21
	v_add_f32_e32 v11, v11, v23
	v_cndmask_b32_e64 v23, -v36, v36, s18
	ds_bpermute_b32 v36, v39, v41
	ds_bpermute_b32 v101, v39, v103
	s_waitcnt lgkmcnt(3)
	v_add_f32_e32 v21, v24, v26
	v_cndmask_b32_e64 v24, -v40, v40, s18
	ds_bpermute_b32 v40, v39, v43
	v_cndmask_b32_e64 v26, -v103, v103, s18
	ds_bpermute_b32 v103, v39, v105
	v_add_f32_e32 v24, v24, v35
	v_cndmask_b32_e64 v35, -v43, v43, s18
	v_add_f32_e32 v10, v10, v18
	v_cndmask_b32_e64 v18, -v34, v34, s18
	ds_bpermute_b32 v34, v39, v37
	v_cndmask_b32_e64 v43, -v106, v106, s18
	s_waitcnt lgkmcnt(5)
	v_add_f32_e32 v18, v18, v20
	v_add_f32_e32 v20, v23, v22
	;; [unrolled: 1-line block ×3, first 2 shown]
	v_cndmask_b32_e64 v23, -v37, v37, s18
	v_cndmask_b32_e64 v25, -v41, v41, s18
	ds_bpermute_b32 v37, v39, v42
	ds_bpermute_b32 v41, v39, v44
	v_cndmask_b32_e64 v27, -v104, v104, s18
	ds_bpermute_b32 v104, v39, v106
	s_waitcnt lgkmcnt(7)
	v_add_f32_e32 v25, v25, v36
	v_cndmask_b32_e64 v36, -v44, v44, s18
	ds_bpermute_b32 v44, v39, v45
	ds_bpermute_b32 v106, v39, v108
	v_add_f32_e32 v27, v27, v102
	ds_bpermute_b32 v102, v39, v47
	s_waitcnt lgkmcnt(8)
	v_add_f32_e32 v35, v35, v40
	s_waitcnt lgkmcnt(6)
	v_add_f32_e32 v23, v23, v34
	v_cndmask_b32_e64 v34, -v42, v42, s18
	v_cndmask_b32_e64 v42, -v105, v105, s18
	ds_bpermute_b32 v105, v39, v107
	s_waitcnt lgkmcnt(6)
	v_add_f32_e32 v34, v34, v37
	v_add_f32_e32 v37, v42, v103
	v_cndmask_b32_e64 v42, -v46, v46, s18
	ds_bpermute_b32 v103, v39, v50
	v_add_f32_e32 v26, v26, v101
	ds_bpermute_b32 v101, v39, v46
	v_cndmask_b32_e64 v46, -v108, v108, s18
	s_waitcnt lgkmcnt(7)
	v_add_f32_e32 v36, v36, v41
	v_cndmask_b32_e64 v41, -v45, v45, s18
	v_cndmask_b32_e64 v45, -v107, v107, s18
	ds_bpermute_b32 v107, v39, v109
	ds_bpermute_b32 v108, v39, v110
	s_waitcnt lgkmcnt(7)
	v_add_f32_e32 v41, v41, v44
	s_waitcnt lgkmcnt(4)
	v_add_f32_e32 v44, v45, v105
	ds_bpermute_b32 v105, v39, v53
	v_cndmask_b32_e64 v53, -v53, v53, s18
	v_add_f32_e32 v40, v43, v104
	v_cndmask_b32_e64 v43, -v47, v47, s18
	ds_bpermute_b32 v47, v39, v49
	ds_bpermute_b32 v104, v39, v51
	v_add_f32_e32 v45, v46, v106
	v_cndmask_b32_e64 v46, -v49, v49, s18
	v_cndmask_b32_e64 v49, -v50, v50, s18
	;; [unrolled: 1-line block ×4, first 2 shown]
	ds_bpermute_b32 v109, v39, v111
	v_add_f32_e32 v43, v43, v102
	ds_bpermute_b32 v102, v39, v52
	ds_bpermute_b32 v106, v39, v54
	v_cndmask_b32_e64 v52, -v52, v52, s18
	v_cndmask_b32_e64 v54, -v54, v54, s18
	s_waitcnt lgkmcnt(4)
	v_add_f32_e32 v46, v46, v47
	v_add_f32_e32 v47, v49, v103
	s_waitcnt lgkmcnt(3)
	v_dual_add_f32 v49, v50, v104 :: v_dual_add_f32 v50, v51, v107
	ds_bpermute_b32 v107, v39, v55
	v_add_f32_e32 v42, v42, v101
	v_cndmask_b32_e64 v101, -v110, v110, s18
	ds_bpermute_b32 v110, v39, v112
	v_cndmask_b32_e64 v103, -v111, v111, s18
	v_cndmask_b32_e64 v104, -v112, v112, s18
	ds_bpermute_b32 v112, v39, v113
	ds_bpermute_b32 v111, v39, v57
	v_add_f32_e32 v51, v101, v108
	s_waitcnt lgkmcnt(6)
	v_add_f32_e32 v103, v103, v109
	ds_bpermute_b32 v109, v39, v59
	v_add_f32_e32 v101, v53, v105
	v_cndmask_b32_e64 v53, -v55, v55, s18
	v_cndmask_b32_e64 v55, -v57, v57, s18
	;; [unrolled: 1-line block ×3, first 2 shown]
	ds_bpermute_b32 v108, v39, v56
	s_waitcnt lgkmcnt(7)
	v_add_f32_e32 v52, v52, v102
	s_waitcnt lgkmcnt(6)
	v_add_f32_e32 v102, v54, v106
	v_cndmask_b32_e64 v54, -v56, v56, s18
	v_cndmask_b32_e64 v56, -v113, v113, s18
	ds_bpermute_b32 v106, v39, v58
	v_add_f32_e32 v105, v57, v141
	v_cndmask_b32_e64 v57, -v58, v58, s18
	v_cndmask_b32_e64 v58, -v59, v59, s18
	s_waitcnt lgkmcnt(5)
	v_add_f32_e32 v104, v104, v110
	ds_bpermute_b32 v110, v39, v61
	ds_bpermute_b32 v114, v39, v116
	s_waitcnt lgkmcnt(6)
	v_add_f32_e32 v56, v56, v112
	ds_bpermute_b32 v112, v39, v62
	ds_bpermute_b32 v113, v39, v115
	v_add_f32_e32 v53, v53, v107
	s_waitcnt lgkmcnt(7)
	v_add_f32_e32 v55, v55, v111
	v_cndmask_b32_e64 v59, -v61, v61, s18
	v_cndmask_b32_e64 v61, -v115, v115, s18
	v_cndmask_b32_e64 v111, -v116, v116, s18
	ds_bpermute_b32 v115, v39, v63
	ds_bpermute_b32 v116, v39, v64
	s_waitcnt lgkmcnt(8)
	v_add_f32_e32 v107, v58, v109
	v_cndmask_b32_e64 v58, -v63, v63, s18
	ds_bpermute_b32 v63, v39, v65
	s_waitcnt lgkmcnt(8)
	v_add_f32_e32 v54, v54, v108
	ds_bpermute_b32 v141, v39, v117
	ds_store_b128 v48, v[0:3]
	ds_store_b128 v48, v[4:7] offset:4096
	ds_store_b128 v48, v[12:15] offset:8192
	;; [unrolled: 1-line block ×7, first 2 shown]
	s_waitcnt lgkmcnt(0)
	s_barrier
	v_add_f32_e32 v108, v59, v110
	v_cndmask_b32_e64 v59, -v64, v64, s18
	v_add_f32_e32 v106, v57, v106
	v_cndmask_b32_e64 v57, -v62, v62, s18
	ds_bpermute_b32 v64, v39, v66
	v_dual_add_f32 v110, v111, v114 :: v_dual_add_f32 v109, v61, v113
	v_cndmask_b32_e64 v62, -v118, v118, s18
	v_add_f32_e32 v111, v57, v112
	v_cndmask_b32_e64 v57, -v65, v65, s18
	ds_bpermute_b32 v118, v39, v67
	v_add_f32_e32 v113, v59, v116
	ds_bpermute_b32 v65, v39, v68
	v_cndmask_b32_e64 v61, -v117, v117, s18
	v_add_f32_e32 v116, v57, v63
	v_cndmask_b32_e64 v57, -v68, v68, s18
	v_add_f32_e32 v112, v58, v115
	v_cndmask_b32_e64 v58, -v66, v66, s18
	ds_bpermute_b32 v66, v39, v69
	v_cndmask_b32_e64 v59, -v67, v67, s18
	ds_bpermute_b32 v67, v39, v70
	v_add_f32_e32 v115, v62, v142
	ds_bpermute_b32 v63, v39, v71
	ds_bpermute_b32 v68, v39, v73
	s_waitcnt lgkmcnt(6)
	v_add_f32_e32 v117, v58, v64
	v_cndmask_b32_e64 v58, -v69, v69, s18
	ds_bpermute_b32 v64, v39, v72
	v_cndmask_b32_e64 v62, -v120, v120, s18
	ds_bpermute_b32 v69, v39, v123
	s_waitcnt lgkmcnt(0)
	buffer_gl0_inv
	v_add_f32_e32 v120, v62, v144
	v_cndmask_b32_e64 v62, -v122, v122, s18
	v_add_f32_e32 v142, v58, v66
	v_cndmask_b32_e64 v58, -v72, v72, s18
	;; [unrolled: 2-line block ×3, first 2 shown]
	ds_bpermute_b32 v70, v39, v124
	v_add_f32_e32 v114, v61, v141
	v_add_f32_e32 v141, v57, v65
	ds_bpermute_b32 v65, v39, v74
	v_cndmask_b32_e64 v61, -v119, v119, s18
	v_cndmask_b32_e64 v57, -v71, v71, s18
	ds_bpermute_b32 v72, v39, v126
	ds_bpermute_b32 v66, v39, v75
	;; [unrolled: 1-line block ×3, first 2 shown]
	v_add_f32_e32 v119, v61, v143
	v_add_f32_e32 v143, v59, v67
	v_cndmask_b32_e64 v61, -v121, v121, s18
	v_add_f32_e32 v121, v62, v146
	v_cndmask_b32_e64 v59, -v73, v73, s18
	v_cndmask_b32_e64 v62, -v124, v124, s18
	ds_bpermute_b32 v67, v39, v76
	v_add_f32_e32 v124, v59, v68
	v_cndmask_b32_e64 v59, -v76, v76, s18
	v_add_f32_e32 v144, v61, v145
	v_cndmask_b32_e64 v61, -v123, v123, s18
	s_waitcnt lgkmcnt(5)
	v_add_f32_e32 v146, v62, v70
	v_cndmask_b32_e64 v62, -v126, v126, s18
	v_add_f32_e32 v122, v57, v63
	v_cndmask_b32_e64 v57, -v74, v74, s18
	ds_bpermute_b32 v63, v39, v77
	ds_bpermute_b32 v68, v39, v79
	s_waitcnt lgkmcnt(5)
	v_add_f32_e32 v151, v62, v72
	ds_bpermute_b32 v70, v39, v128
	v_add_f32_e32 v145, v61, v69
	ds_bpermute_b32 v69, v39, v127
	;; [unrolled: 2-line block ×3, first 2 shown]
	v_add_f32_e32 v123, v58, v64
	v_cndmask_b32_e64 v58, -v75, v75, s18
	v_cndmask_b32_e64 v61, -v125, v125, s18
	ds_bpermute_b32 v64, v39, v78
	s_waitcnt lgkmcnt(6)
	v_add_f32_e32 v149, v59, v67
	v_cndmask_b32_e64 v57, -v77, v77, s18
	v_cndmask_b32_e64 v59, -v79, v79, s18
	;; [unrolled: 1-line block ×3, first 2 shown]
	ds_bpermute_b32 v67, v39, v82
	ds_bpermute_b32 v72, v39, v130
	s_waitcnt lgkmcnt(6)
	v_add_f32_e32 v126, v59, v68
	v_cndmask_b32_e64 v59, -v82, v82, s18
	v_add_f32_e32 v148, v58, v66
	v_cndmask_b32_e64 v58, -v78, v78, s18
	;; [unrolled: 2-line block ×3, first 2 shown]
	ds_bpermute_b32 v66, v39, v81
	ds_bpermute_b32 v71, v39, v129
	s_waitcnt lgkmcnt(7)
	v_add_f32_e32 v128, v62, v70
	v_cndmask_b32_e64 v62, -v130, v130, s18
	v_add_f32_e32 v152, v57, v63
	v_cndmask_b32_e64 v57, -v80, v80, s18
	ds_bpermute_b32 v63, v39, v83
	ds_bpermute_b32 v68, v39, v85
	;; [unrolled: 1-line block ×3, first 2 shown]
	s_waitcnt lgkmcnt(9)
	v_add_f32_e32 v127, v61, v69
	ds_bpermute_b32 v69, v39, v131
	s_waitcnt lgkmcnt(9)
	v_add_f32_e32 v153, v57, v65
	ds_bpermute_b32 v65, v39, v86
	s_waitcnt lgkmcnt(9)
	v_add_f32_e32 v125, v58, v64
	v_cndmask_b32_e64 v58, -v81, v81, s18
	v_cndmask_b32_e64 v61, -v129, v129, s18
	s_waitcnt lgkmcnt(7)
	v_add_f32_e32 v129, v62, v72
	ds_bpermute_b32 v64, v39, v84
	v_add_f32_e32 v155, v59, v67
	v_cndmask_b32_e64 v57, -v83, v83, s18
	v_cndmask_b32_e64 v59, -v85, v85, s18
	;; [unrolled: 1-line block ×3, first 2 shown]
	ds_bpermute_b32 v67, v39, v88
	ds_bpermute_b32 v72, v39, v134
	s_waitcnt lgkmcnt(6)
	v_add_f32_e32 v132, v59, v68
	s_waitcnt lgkmcnt(5)
	v_add_f32_e32 v158, v62, v70
	v_cndmask_b32_e64 v59, -v88, v88, s18
	v_add_f32_e32 v154, v58, v66
	v_cndmask_b32_e64 v58, -v84, v84, s18
	;; [unrolled: 2-line block ×3, first 2 shown]
	ds_bpermute_b32 v66, v39, v87
	ds_bpermute_b32 v71, v39, v133
	v_cndmask_b32_e64 v62, -v134, v134, s18
	s_waitcnt lgkmcnt(4)
	v_dual_add_f32 v131, v58, v64 :: v_dual_add_f32 v130, v57, v63
	v_cndmask_b32_e64 v57, -v86, v86, s18
	ds_bpermute_b32 v63, v39, v89
	ds_bpermute_b32 v68, v39, v91
	;; [unrolled: 1-line block ×3, first 2 shown]
	s_waitcnt lgkmcnt(5)
	v_add_f32_e32 v163, v62, v72
	v_add_f32_e32 v157, v61, v69
	ds_bpermute_b32 v69, v39, v135
	v_add_f32_e32 v159, v57, v65
	ds_bpermute_b32 v65, v39, v92
	v_cndmask_b32_e64 v58, -v87, v87, s18
	v_cndmask_b32_e64 v61, -v133, v133, s18
	v_add_f32_e32 v161, v59, v67
	v_cndmask_b32_e64 v57, -v89, v89, s18
	v_cndmask_b32_e64 v59, -v91, v91, s18
	;; [unrolled: 1-line block ×3, first 2 shown]
	ds_bpermute_b32 v64, v39, v90
	ds_bpermute_b32 v67, v39, v94
	;; [unrolled: 1-line block ×3, first 2 shown]
	s_waitcnt lgkmcnt(6)
	v_add_f32_e32 v134, v59, v68
	s_waitcnt lgkmcnt(5)
	v_add_f32_e32 v136, v62, v70
	v_cndmask_b32_e64 v59, -v94, v94, s18
	v_add_f32_e32 v160, v58, v66
	v_cndmask_b32_e64 v58, -v90, v90, s18
	;; [unrolled: 2-line block ×3, first 2 shown]
	ds_bpermute_b32 v71, v39, v137
	v_cndmask_b32_e64 v62, -v138, v138, s18
	v_add_f32_e32 v164, v57, v63
	v_cndmask_b32_e64 v57, -v92, v92, s18
	ds_bpermute_b32 v66, v39, v93
	s_waitcnt lgkmcnt(6)
	v_add_f32_e32 v135, v61, v69
	ds_bpermute_b32 v63, v39, v95
	ds_bpermute_b32 v69, v39, v139
	;; [unrolled: 1-line block ×3, first 2 shown]
	s_waitcnt lgkmcnt(8)
	v_add_f32_e32 v165, v57, v65
	ds_bpermute_b32 v65, v39, v28
	v_cndmask_b32_e64 v61, -v137, v137, s18
	s_waitcnt lgkmcnt(6)
	v_add_f32_e32 v137, v62, v72
	v_add_f32_e32 v133, v58, v64
	v_cndmask_b32_e64 v58, -v93, v93, s18
	ds_bpermute_b32 v64, v39, v96
	v_cndmask_b32_e64 v57, -v95, v95, s18
	v_cndmask_b32_e64 v62, -v140, v140, s18
	v_cndmask_b32_e64 v28, -v28, v28, s18
	ds_bpermute_b32 v68, v39, v97
	s_waitcnt lgkmcnt(7)
	v_add_f32_e32 v168, v61, v71
	v_cndmask_b32_e64 v61, -v139, v139, s18
	v_add_f32_e32 v167, v59, v67
	ds_bpermute_b32 v67, v39, v30
	ds_bpermute_b32 v71, v39, v38
	;; [unrolled: 1-line block ×3, first 2 shown]
	v_cndmask_b32_e64 v59, -v97, v97, s18
	s_waitcnt lgkmcnt(6)
	v_dual_add_f32 v169, v61, v69 :: v_dual_add_f32 v170, v62, v70
	ds_bpermute_b32 v61, v39, v99
	v_cndmask_b32_e64 v62, -v98, v98, s18
	v_add_f32_e32 v138, v57, v63
	ds_bpermute_b32 v57, v39, v31
	s_waitcnt lgkmcnt(7)
	v_add_f32_e32 v171, v28, v65
	v_cndmask_b32_e64 v28, -v31, v31, s18
	v_cndmask_b32_e64 v31, -v99, v99, s18
	v_add_f32_e32 v166, v58, v66
	ds_bpermute_b32 v66, v39, v29
	v_cndmask_b32_e64 v58, -v96, v96, s18
	v_cndmask_b32_e64 v29, -v29, v29, s18
	;; [unrolled: 1-line block ×4, first 2 shown]
	s_waitcnt lgkmcnt(6)
	v_add_f32_e32 v140, v59, v68
	v_add_f32_e32 v139, v58, v64
	ds_bpermute_b32 v58, v39, v32
	s_waitcnt lgkmcnt(6)
	v_add_f32_e32 v173, v30, v67
	ds_bpermute_b32 v59, v39, v33
	ds_bpermute_b32 v39, v39, v100
	s_waitcnt lgkmcnt(6)
	v_add_f32_e32 v175, v62, v72
	v_cndmask_b32_e64 v30, -v33, v33, s18
	s_waitcnt lgkmcnt(5)
	v_add_f32_e32 v179, v31, v61
	s_waitcnt lgkmcnt(4)
	v_add_f32_e32 v176, v28, v57
	;; [unrolled: 2-line block ×3, first 2 shown]
	v_cndmask_b32_e64 v29, -v32, v32, s18
	v_add_f32_e32 v174, v38, v71
	ds_load_b128 v[64:67], v60
	ds_load_b128 v[0:3], v60 offset:4096
	ds_load_b128 v[68:71], v60 offset:8192
	ds_load_b128 v[4:7], v60 offset:12288
	ds_load_b128 v[72:75], v60 offset:16384
	ds_load_b128 v[8:11], v60 offset:20480
	ds_load_b128 v[76:79], v60 offset:24576
	ds_load_b128 v[12:15], v60 offset:28672
	v_cndmask_b32_e64 v32, -v100, v100, s18
	s_waitcnt lgkmcnt(0)
	s_barrier
	v_add_f32_e32 v177, v29, v58
	buffer_gl0_inv
	v_add_f32_e32 v178, v30, v59
	v_add_f32_e32 v180, v32, v39
	ds_store_b128 v48, v[40:43]
	ds_store_b128 v48, v[44:47] offset:4096
	ds_store_b128 v48, v[49:52] offset:8192
	;; [unrolled: 1-line block ×7, first 2 shown]
	s_waitcnt lgkmcnt(0)
	s_barrier
	buffer_gl0_inv
	ds_load_b128 v[80:83], v60
	ds_load_b128 v[16:19], v60 offset:4096
	ds_load_b128 v[84:87], v60 offset:8192
	;; [unrolled: 1-line block ×7, first 2 shown]
	s_waitcnt lgkmcnt(0)
	s_barrier
	buffer_gl0_inv
	ds_store_b128 v48, v[117:120]
	ds_store_b128 v48, v[141:144] offset:4096
	ds_store_b128 v48, v[121:124] offset:8192
	;; [unrolled: 1-line block ×7, first 2 shown]
	s_waitcnt lgkmcnt(0)
	s_barrier
	buffer_gl0_inv
	ds_load_b128 v[96:99], v60
	ds_load_b128 v[32:35], v60 offset:4096
	ds_load_b128 v[100:103], v60 offset:8192
	;; [unrolled: 1-line block ×7, first 2 shown]
	s_waitcnt lgkmcnt(0)
	s_barrier
	buffer_gl0_inv
	v_add_f32_e32 v129, v64, v68
	v_add_f32_e32 v131, v72, v76
	ds_store_b128 v48, v[157:160]
	ds_store_b128 v48, v[161:164] offset:4096
	ds_store_b128 v48, v[133:136] offset:8192
	;; [unrolled: 1-line block ×7, first 2 shown]
	s_waitcnt lgkmcnt(0)
	s_barrier
	buffer_gl0_inv
	ds_load_b128 v[112:115], v60 offset:8192
	ds_load_b128 v[116:119], v60 offset:16384
	ds_load_b128 v[120:123], v60
	ds_load_b128 v[124:127], v60 offset:24576
	ds_load_b128 v[48:51], v60 offset:4096
	;; [unrolled: 1-line block ×5, first 2 shown]
	v_dual_add_f32 v135, v88, v92 :: v_dual_add_f32 v168, v129, v131
	v_add_f32_e32 v137, v104, v108
	s_waitcnt lgkmcnt(5)
	v_add_f32_e32 v138, v120, v112
	s_waitcnt lgkmcnt(4)
	v_add_f32_e32 v139, v116, v124
	s_delay_alu instid0(VALU_DEP_1) | instskip(NEXT) | instid1(VALU_DEP_1)
	v_dual_add_f32 v134, v80, v84 :: v_dual_add_f32 v171, v138, v139
	v_dual_add_f32 v136, v96, v100 :: v_dual_add_f32 v169, v134, v135
	s_delay_alu instid0(VALU_DEP_1) | instskip(NEXT) | instid1(VALU_DEP_1)
	v_add_f32_e32 v170, v136, v137
	v_dual_add_f32 v152, v168, v169 :: v_dual_add_f32 v153, v170, v171
	s_delay_alu instid0(VALU_DEP_1) | instskip(NEXT) | instid1(VALU_DEP_1)
	v_add_f32_e32 v128, v152, v153
	v_mul_f32_e32 v128, s21, v128
	s_delay_alu instid0(VALU_DEP_1) | instskip(NEXT) | instid1(VALU_DEP_1)
	v_and_b32_e32 v130, 0x7f800000, v128
	v_cmp_ne_u32_e64 s1, 0x7f800000, v130
                                        ; implicit-def: $vgpr130
                                        ; kill: killed $vgpr130
	s_delay_alu instid0(VALU_DEP_1) | instskip(NEXT) | instid1(SALU_CYCLE_1)
	s_and_saveexec_b32 s17, s1
	s_xor_b32 s1, exec_lo, s17
	s_cbranch_execz .LBB38_34
; %bb.33:
	v_bfe_u32 v130, v128, 16, 1
	s_delay_alu instid0(VALU_DEP_1)
	v_add3_u32 v128, v128, v130, 0x7fff
	scratch_store_b32 off, v128, off offset:76 ; 4-byte Folded Spill
                                        ; implicit-def: $vgpr128
.LBB38_34:
	s_and_not1_saveexec_b32 s17, s1
	s_cbranch_execz .LBB38_36
; %bb.35:
	v_and_b32_e32 v130, 0xffff, v128
	v_or_b32_e32 v132, 0x10000, v128
	s_delay_alu instid0(VALU_DEP_2) | instskip(NEXT) | instid1(VALU_DEP_1)
	v_cmp_eq_u32_e64 s1, 0, v130
	v_cndmask_b32_e64 v128, v132, v128, s1
	scratch_store_b32 off, v128, off offset:76 ; 4-byte Folded Spill
.LBB38_36:
	s_or_b32 exec_lo, exec_lo, s17
	v_add_f32_e32 v146, v121, v113
	v_add_f32_e32 v214, v117, v125
	;; [unrolled: 1-line block ×5, first 2 shown]
	s_delay_alu instid0(VALU_DEP_4) | instskip(NEXT) | instid1(VALU_DEP_2)
	v_dual_add_f32 v175, v146, v214 :: v_dual_add_f32 v144, v97, v101
	v_dual_add_f32 v140, v65, v69 :: v_dual_add_f32 v173, v142, v143
	s_delay_alu instid0(VALU_DEP_2) | instskip(NEXT) | instid1(VALU_DEP_1)
	v_add_f32_e32 v174, v144, v145
	v_add_f32_e32 v155, v174, v175
	;; [unrolled: 1-line block ×3, first 2 shown]
	s_delay_alu instid0(VALU_DEP_1) | instskip(NEXT) | instid1(VALU_DEP_1)
	v_add_f32_e32 v172, v140, v141
	v_add_f32_e32 v154, v172, v173
	s_delay_alu instid0(VALU_DEP_1) | instskip(NEXT) | instid1(VALU_DEP_1)
	v_add_f32_e32 v128, v154, v155
	v_mul_f32_e32 v128, s21, v128
	s_delay_alu instid0(VALU_DEP_1) | instskip(NEXT) | instid1(VALU_DEP_1)
	v_and_b32_e32 v130, 0x7f800000, v128
	v_cmp_ne_u32_e64 s1, 0x7f800000, v130
                                        ; implicit-def: $vgpr130
                                        ; kill: killed $vgpr130
	s_delay_alu instid0(VALU_DEP_1) | instskip(NEXT) | instid1(SALU_CYCLE_1)
	s_and_saveexec_b32 s17, s1
	s_xor_b32 s1, exec_lo, s17
	s_cbranch_execz .LBB38_38
; %bb.37:
	v_bfe_u32 v130, v128, 16, 1
	s_delay_alu instid0(VALU_DEP_1)
	v_add3_u32 v128, v128, v130, 0x7fff
	scratch_store_b32 off, v128, off offset:80 ; 4-byte Folded Spill
                                        ; implicit-def: $vgpr128
.LBB38_38:
	s_and_not1_saveexec_b32 s17, s1
	s_cbranch_execz .LBB38_40
; %bb.39:
	v_and_b32_e32 v130, 0xffff, v128
	v_or_b32_e32 v132, 0x10000, v128
	s_delay_alu instid0(VALU_DEP_2) | instskip(NEXT) | instid1(VALU_DEP_1)
	v_cmp_eq_u32_e64 s1, 0, v130
	v_cndmask_b32_e64 v128, v132, v128, s1
	scratch_store_b32 off, v128, off offset:80 ; 4-byte Folded Spill
.LBB38_40:
	s_or_b32 exec_lo, exec_lo, s17
	v_add_f32_e32 v219, v98, v102
	v_add_f32_e32 v220, v106, v110
	;; [unrolled: 1-line block ×6, first 2 shown]
	v_dual_add_f32 v178, v219, v220 :: v_dual_add_f32 v217, v82, v86
	s_delay_alu instid0(VALU_DEP_1) | instskip(NEXT) | instid1(VALU_DEP_1)
	v_dual_add_f32 v176, v215, v216 :: v_dual_add_f32 v177, v217, v218
	v_dual_add_f32 v156, v176, v177 :: v_dual_add_f32 v221, v122, v114
	s_delay_alu instid0(VALU_DEP_1) | instskip(NEXT) | instid1(VALU_DEP_1)
	v_add_f32_e32 v179, v221, v222
	v_add_f32_e32 v157, v178, v179
	s_delay_alu instid0(VALU_DEP_1) | instskip(NEXT) | instid1(VALU_DEP_1)
	v_add_f32_e32 v128, v156, v157
	v_mul_f32_e32 v128, s21, v128
	s_delay_alu instid0(VALU_DEP_1) | instskip(NEXT) | instid1(VALU_DEP_1)
	v_and_b32_e32 v130, 0x7f800000, v128
	v_cmp_ne_u32_e64 s1, 0x7f800000, v130
                                        ; implicit-def: $vgpr130
                                        ; kill: killed $vgpr130
	s_delay_alu instid0(VALU_DEP_1) | instskip(NEXT) | instid1(SALU_CYCLE_1)
	s_and_saveexec_b32 s17, s1
	s_xor_b32 s1, exec_lo, s17
	s_cbranch_execz .LBB38_42
; %bb.41:
	v_bfe_u32 v130, v128, 16, 1
	s_delay_alu instid0(VALU_DEP_1)
	v_add3_u32 v128, v128, v130, 0x7fff
	scratch_store_b32 off, v128, off offset:84 ; 4-byte Folded Spill
                                        ; implicit-def: $vgpr128
.LBB38_42:
	s_and_not1_saveexec_b32 s17, s1
	s_cbranch_execz .LBB38_44
; %bb.43:
	v_and_b32_e32 v130, 0xffff, v128
	v_or_b32_e32 v132, 0x10000, v128
	s_delay_alu instid0(VALU_DEP_2) | instskip(NEXT) | instid1(VALU_DEP_1)
	v_cmp_eq_u32_e64 s1, 0, v130
	v_cndmask_b32_e64 v128, v132, v128, s1
	scratch_store_b32 off, v128, off offset:84 ; 4-byte Folded Spill
.LBB38_44:
	s_or_b32 exec_lo, exec_lo, s17
	v_add_f32_e32 v225, v83, v87
	v_add_f32_e32 v229, v123, v115
	;; [unrolled: 1-line block ×5, first 2 shown]
	s_delay_alu instid0(VALU_DEP_3) | instskip(NEXT) | instid1(VALU_DEP_3)
	v_dual_add_f32 v228, v107, v111 :: v_dual_add_f32 v183, v229, v230
	v_dual_add_f32 v224, v75, v79 :: v_dual_add_f32 v181, v225, v226
	v_add_f32_e32 v223, v67, v71
	s_delay_alu instid0(VALU_DEP_3) | instskip(NEXT) | instid1(VALU_DEP_1)
	v_add_f32_e32 v182, v227, v228
	v_dual_add_f32 v180, v223, v224 :: v_dual_add_f32 v159, v182, v183
	s_delay_alu instid0(VALU_DEP_1) | instskip(NEXT) | instid1(VALU_DEP_1)
	v_add_f32_e32 v158, v180, v181
	v_add_f32_e32 v128, v158, v159
	s_delay_alu instid0(VALU_DEP_1) | instskip(NEXT) | instid1(VALU_DEP_1)
	v_mul_f32_e32 v128, s21, v128
	v_and_b32_e32 v130, 0x7f800000, v128
	s_delay_alu instid0(VALU_DEP_1) | instskip(NEXT) | instid1(VALU_DEP_1)
	v_cmp_ne_u32_e64 s1, 0x7f800000, v130
                                        ; implicit-def: $vgpr130
                                        ; kill: killed $vgpr130
	s_and_saveexec_b32 s17, s1
	s_delay_alu instid0(SALU_CYCLE_1)
	s_xor_b32 s1, exec_lo, s17
	s_cbranch_execz .LBB38_46
; %bb.45:
	v_bfe_u32 v130, v128, 16, 1
	s_delay_alu instid0(VALU_DEP_1)
	v_add3_u32 v128, v128, v130, 0x7fff
	scratch_store_b32 off, v128, off offset:88 ; 4-byte Folded Spill
                                        ; implicit-def: $vgpr128
.LBB38_46:
	s_and_not1_saveexec_b32 s17, s1
	s_cbranch_execz .LBB38_48
; %bb.47:
	v_and_b32_e32 v130, 0xffff, v128
	v_or_b32_e32 v132, 0x10000, v128
	s_delay_alu instid0(VALU_DEP_2) | instskip(NEXT) | instid1(VALU_DEP_1)
	v_cmp_eq_u32_e64 s1, 0, v130
	v_cndmask_b32_e64 v128, v132, v128, s1
	scratch_store_b32 off, v128, off offset:88 ; 4-byte Folded Spill
.LBB38_48:
	s_or_b32 exec_lo, exec_lo, s17
	s_waitcnt lgkmcnt(2)
	v_add_f32_e32 v237, v48, v52
	s_waitcnt lgkmcnt(0)
	v_add_f32_e32 v238, v56, v60
	v_add_f32_e32 v231, v0, v4
	;; [unrolled: 1-line block ×5, first 2 shown]
	v_dual_add_f32 v187, v237, v238 :: v_dual_add_f32 v232, v8, v12
	s_delay_alu instid0(VALU_DEP_3) | instskip(NEXT) | instid1(VALU_DEP_2)
	v_dual_add_f32 v236, v40, v44 :: v_dual_add_f32 v185, v233, v234
	v_add_f32_e32 v184, v231, v232
	s_delay_alu instid0(VALU_DEP_2) | instskip(NEXT) | instid1(VALU_DEP_1)
	v_add_f32_e32 v186, v235, v236
	v_dual_add_f32 v160, v184, v185 :: v_dual_add_f32 v161, v186, v187
	s_delay_alu instid0(VALU_DEP_1) | instskip(NEXT) | instid1(VALU_DEP_1)
	v_add_f32_e32 v128, v160, v161
	v_mul_f32_e32 v128, s21, v128
	s_delay_alu instid0(VALU_DEP_1) | instskip(NEXT) | instid1(VALU_DEP_1)
	v_and_b32_e32 v130, 0x7f800000, v128
	v_cmp_ne_u32_e64 s1, 0x7f800000, v130
                                        ; implicit-def: $vgpr130
                                        ; kill: killed $vgpr130
	s_delay_alu instid0(VALU_DEP_1) | instskip(NEXT) | instid1(SALU_CYCLE_1)
	s_and_saveexec_b32 s17, s1
	s_xor_b32 s1, exec_lo, s17
	s_cbranch_execz .LBB38_50
; %bb.49:
	v_bfe_u32 v130, v128, 16, 1
	s_delay_alu instid0(VALU_DEP_1)
	v_add3_u32 v128, v128, v130, 0x7fff
	scratch_store_b32 off, v128, off offset:92 ; 4-byte Folded Spill
                                        ; implicit-def: $vgpr128
.LBB38_50:
	s_and_not1_saveexec_b32 s17, s1
	s_cbranch_execz .LBB38_52
; %bb.51:
	v_and_b32_e32 v130, 0xffff, v128
	v_or_b32_e32 v132, 0x10000, v128
	s_delay_alu instid0(VALU_DEP_2) | instskip(NEXT) | instid1(VALU_DEP_1)
	v_cmp_eq_u32_e64 s1, 0, v130
	v_cndmask_b32_e64 v128, v132, v128, s1
	scratch_store_b32 off, v128, off offset:92 ; 4-byte Folded Spill
.LBB38_52:
	s_or_b32 exec_lo, exec_lo, s17
	v_add_f32_e32 v243, v33, v37
	v_add_f32_e32 v244, v41, v45
	;; [unrolled: 1-line block ×6, first 2 shown]
	s_delay_alu instid0(VALU_DEP_3) | instskip(NEXT) | instid1(VALU_DEP_1)
	v_dual_add_f32 v190, v243, v244 :: v_dual_add_f32 v191, v245, v246
	v_dual_add_f32 v240, v9, v13 :: v_dual_add_f32 v163, v190, v191
	s_delay_alu instid0(VALU_DEP_1) | instskip(NEXT) | instid1(VALU_DEP_1)
	v_dual_add_f32 v241, v17, v21 :: v_dual_add_f32 v188, v239, v240
	v_add_f32_e32 v189, v241, v242
	s_delay_alu instid0(VALU_DEP_1) | instskip(NEXT) | instid1(VALU_DEP_1)
	v_add_f32_e32 v162, v188, v189
	v_add_f32_e32 v128, v162, v163
	s_delay_alu instid0(VALU_DEP_1) | instskip(NEXT) | instid1(VALU_DEP_1)
	v_mul_f32_e32 v128, s21, v128
	v_and_b32_e32 v130, 0x7f800000, v128
	s_delay_alu instid0(VALU_DEP_1) | instskip(NEXT) | instid1(VALU_DEP_1)
	v_cmp_ne_u32_e64 s1, 0x7f800000, v130
                                        ; implicit-def: $vgpr130
                                        ; kill: killed $vgpr130
	s_and_saveexec_b32 s17, s1
	s_delay_alu instid0(SALU_CYCLE_1)
	s_xor_b32 s1, exec_lo, s17
	s_cbranch_execz .LBB38_54
; %bb.53:
	v_bfe_u32 v130, v128, 16, 1
	s_delay_alu instid0(VALU_DEP_1)
	v_add3_u32 v128, v128, v130, 0x7fff
	scratch_store_b32 off, v128, off offset:96 ; 4-byte Folded Spill
                                        ; implicit-def: $vgpr128
.LBB38_54:
	s_and_not1_saveexec_b32 s17, s1
	s_cbranch_execz .LBB38_56
; %bb.55:
	v_and_b32_e32 v130, 0xffff, v128
	v_or_b32_e32 v132, 0x10000, v128
	s_delay_alu instid0(VALU_DEP_2) | instskip(NEXT) | instid1(VALU_DEP_1)
	v_cmp_eq_u32_e64 s1, 0, v130
	v_cndmask_b32_e64 v128, v132, v128, s1
	scratch_store_b32 off, v128, off offset:96 ; 4-byte Folded Spill
.LBB38_56:
	s_or_b32 exec_lo, exec_lo, s17
	v_add_f32_e32 v251, v34, v38
	v_add_f32_e32 v252, v42, v46
	;; [unrolled: 1-line block ×6, first 2 shown]
	v_dual_add_f32 v194, v251, v252 :: v_dual_add_f32 v249, v18, v22
	s_delay_alu instid0(VALU_DEP_1) | instskip(NEXT) | instid1(VALU_DEP_1)
	v_dual_add_f32 v192, v247, v248 :: v_dual_add_f32 v193, v249, v250
	v_dual_add_f32 v164, v192, v193 :: v_dual_add_f32 v253, v50, v54
	s_delay_alu instid0(VALU_DEP_1) | instskip(NEXT) | instid1(VALU_DEP_1)
	v_add_f32_e32 v195, v253, v254
	v_add_f32_e32 v165, v194, v195
	s_delay_alu instid0(VALU_DEP_1) | instskip(NEXT) | instid1(VALU_DEP_1)
	v_add_f32_e32 v128, v164, v165
	v_mul_f32_e32 v128, s21, v128
	s_delay_alu instid0(VALU_DEP_1) | instskip(NEXT) | instid1(VALU_DEP_1)
	v_and_b32_e32 v130, 0x7f800000, v128
	v_cmp_ne_u32_e64 s1, 0x7f800000, v130
                                        ; implicit-def: $vgpr130
                                        ; kill: killed $vgpr130
	s_delay_alu instid0(VALU_DEP_1) | instskip(NEXT) | instid1(SALU_CYCLE_1)
	s_and_saveexec_b32 s17, s1
	s_xor_b32 s1, exec_lo, s17
	s_cbranch_execz .LBB38_58
; %bb.57:
	v_bfe_u32 v130, v128, 16, 1
	s_delay_alu instid0(VALU_DEP_1)
	v_add3_u32 v128, v128, v130, 0x7fff
	scratch_store_b32 off, v128, off offset:100 ; 4-byte Folded Spill
                                        ; implicit-def: $vgpr128
.LBB38_58:
	s_and_not1_saveexec_b32 s17, s1
	s_cbranch_execz .LBB38_60
; %bb.59:
	v_and_b32_e32 v130, 0xffff, v128
	v_or_b32_e32 v132, 0x10000, v128
	s_delay_alu instid0(VALU_DEP_2) | instskip(NEXT) | instid1(VALU_DEP_1)
	v_cmp_eq_u32_e64 s1, 0, v130
	v_cndmask_b32_e64 v128, v132, v128, s1
	scratch_store_b32 off, v128, off offset:100 ; 4-byte Folded Spill
.LBB38_60:
	s_or_b32 exec_lo, exec_lo, s17
	v_add_f32_e32 v147, v19, v23
	v_add_f32_e32 v148, v27, v31
	;; [unrolled: 1-line block ×8, first 2 shown]
	v_dual_add_f32 v133, v11, v15 :: v_dual_add_f32 v198, v149, v150
	s_delay_alu instid0(VALU_DEP_3) | instskip(NEXT) | instid1(VALU_DEP_1)
	v_add_f32_e32 v199, v151, v132
	v_dual_add_f32 v196, v255, v133 :: v_dual_add_f32 v167, v198, v199
	s_delay_alu instid0(VALU_DEP_1) | instskip(NEXT) | instid1(VALU_DEP_1)
	v_add_f32_e32 v166, v196, v197
	v_add_f32_e32 v128, v166, v167
	s_delay_alu instid0(VALU_DEP_1) | instskip(NEXT) | instid1(VALU_DEP_1)
	v_mul_f32_e32 v128, s21, v128
	v_and_b32_e32 v130, 0x7f800000, v128
	s_delay_alu instid0(VALU_DEP_1) | instskip(NEXT) | instid1(VALU_DEP_1)
	v_cmp_ne_u32_e64 s1, 0x7f800000, v130
                                        ; implicit-def: $vgpr130
                                        ; kill: killed $vgpr130
	s_and_saveexec_b32 s17, s1
	s_delay_alu instid0(SALU_CYCLE_1)
	s_xor_b32 s1, exec_lo, s17
	s_cbranch_execz .LBB38_62
; %bb.61:
	v_bfe_u32 v130, v128, 16, 1
	s_delay_alu instid0(VALU_DEP_1)
	v_add3_u32 v128, v128, v130, 0x7fff
	scratch_store_b32 off, v128, off offset:104 ; 4-byte Folded Spill
                                        ; implicit-def: $vgpr128
.LBB38_62:
	s_and_not1_saveexec_b32 s17, s1
	s_cbranch_execz .LBB38_64
; %bb.63:
	v_and_b32_e32 v130, 0xffff, v128
	v_or_b32_e32 v200, 0x10000, v128
	s_delay_alu instid0(VALU_DEP_2) | instskip(NEXT) | instid1(VALU_DEP_1)
	v_cmp_eq_u32_e64 s1, 0, v130
	v_cndmask_b32_e64 v128, v200, v128, s1
	scratch_store_b32 off, v128, off offset:104 ; 4-byte Folded Spill
.LBB38_64:
	s_or_b32 exec_lo, exec_lo, s17
	v_sub_f32_e32 v64, v64, v68
	v_sub_f32_e32 v128, v72, v76
	;; [unrolled: 1-line block ×8, first 2 shown]
	v_add_f32_e32 v76, v64, v128
	v_add_f32_e32 v124, v130, v92
	;; [unrolled: 1-line block ×3, first 2 shown]
	s_delay_alu instid0(VALU_DEP_4) | instskip(NEXT) | instid1(VALU_DEP_3)
	v_add_f32_e32 v201, v104, v108
	v_add_f32_e32 v68, v76, v124
	s_delay_alu instid0(VALU_DEP_2) | instskip(NEXT) | instid1(VALU_DEP_1)
	v_add_f32_e32 v72, v200, v201
	v_add_f32_e32 v80, v68, v72
	s_delay_alu instid0(VALU_DEP_1) | instskip(NEXT) | instid1(VALU_DEP_1)
	v_mul_f32_e32 v80, s21, v80
	v_and_b32_e32 v84, 0x7f800000, v80
	s_delay_alu instid0(VALU_DEP_1) | instskip(NEXT) | instid1(VALU_DEP_1)
	v_cmp_ne_u32_e64 s1, 0x7f800000, v84
                                        ; implicit-def: $vgpr84
                                        ; kill: killed $vgpr84
	s_and_saveexec_b32 s17, s1
	s_delay_alu instid0(SALU_CYCLE_1)
	s_xor_b32 s1, exec_lo, s17
	s_cbranch_execz .LBB38_66
; %bb.65:
	v_bfe_u32 v84, v80, 16, 1
	s_delay_alu instid0(VALU_DEP_1)
	v_add3_u32 v80, v80, v84, 0x7fff
	scratch_store_b32 off, v80, off offset:108 ; 4-byte Folded Spill
                                        ; implicit-def: $vgpr80
.LBB38_66:
	s_and_not1_saveexec_b32 s17, s1
	s_cbranch_execz .LBB38_68
; %bb.67:
	v_and_b32_e32 v84, 0xffff, v80
	v_or_b32_e32 v88, 0x10000, v80
	s_delay_alu instid0(VALU_DEP_2) | instskip(NEXT) | instid1(VALU_DEP_1)
	v_cmp_eq_u32_e64 s1, 0, v84
	v_cndmask_b32_e64 v80, v88, v80, s1
	scratch_store_b32 off, v80, off offset:108 ; 4-byte Folded Spill
.LBB38_68:
	s_or_b32 exec_lo, exec_lo, s17
	v_sub_f32_e32 v97, v97, v101
	v_sub_f32_e32 v101, v105, v109
	;; [unrolled: 1-line block ×6, first 2 shown]
	v_add_f32_e32 v202, v97, v101
	s_delay_alu instid0(VALU_DEP_4) | instskip(NEXT) | instid1(VALU_DEP_1)
	v_add_f32_e32 v203, v105, v109
	v_dual_sub_f32 v112, v65, v69 :: v_dual_add_f32 v73, v202, v203
	s_delay_alu instid0(VALU_DEP_1) | instskip(NEXT) | instid1(VALU_DEP_1)
	v_dual_sub_f32 v120, v81, v85 :: v_dual_add_f32 v89, v112, v116
	v_add_f32_e32 v125, v120, v93
	s_delay_alu instid0(VALU_DEP_1) | instskip(NEXT) | instid1(VALU_DEP_1)
	v_add_f32_e32 v69, v89, v125
	v_add_f32_e32 v65, v69, v73
	s_delay_alu instid0(VALU_DEP_1) | instskip(NEXT) | instid1(VALU_DEP_1)
	v_mul_f32_e32 v65, s21, v65
	v_and_b32_e32 v77, 0x7f800000, v65
	s_delay_alu instid0(VALU_DEP_1) | instskip(NEXT) | instid1(VALU_DEP_1)
	v_cmp_ne_u32_e64 s1, 0x7f800000, v77
                                        ; implicit-def: $vgpr77
                                        ; kill: killed $vgpr77
	s_and_saveexec_b32 s17, s1
	s_delay_alu instid0(SALU_CYCLE_1)
	s_xor_b32 s1, exec_lo, s17
	s_cbranch_execz .LBB38_70
; %bb.69:
	v_bfe_u32 v77, v65, 16, 1
	s_delay_alu instid0(VALU_DEP_1)
	v_add3_u32 v65, v65, v77, 0x7fff
	scratch_store_b32 off, v65, off offset:112 ; 4-byte Folded Spill
                                        ; implicit-def: $vgpr65
.LBB38_70:
	s_and_not1_saveexec_b32 s17, s1
	s_cbranch_execz .LBB38_72
; %bb.71:
	v_and_b32_e32 v77, 0xffff, v65
	v_or_b32_e32 v80, 0x10000, v65
	s_delay_alu instid0(VALU_DEP_2) | instskip(NEXT) | instid1(VALU_DEP_1)
	v_cmp_eq_u32_e64 s1, 0, v77
	v_cndmask_b32_e64 v65, v80, v65, s1
	scratch_store_b32 off, v65, off offset:112 ; 4-byte Folded Spill
.LBB38_72:
	s_or_b32 exec_lo, exec_lo, s17
	v_sub_f32_e32 v113, v66, v70
	v_sub_f32_e32 v117, v74, v78
	v_sub_f32_e32 v121, v82, v86
	v_sub_f32_e32 v94, v90, v94
	v_sub_f32_e32 v98, v98, v102
	v_sub_f32_e32 v106, v106, v110
	v_sub_f32_e32 v110, v122, v114
	v_sub_f32_e32 v114, v118, v126
	v_add_f32_e32 v102, v113, v117
	v_add_f32_e32 v204, v121, v94
	;; [unrolled: 1-line block ×3, first 2 shown]
	s_delay_alu instid0(VALU_DEP_4) | instskip(NEXT) | instid1(VALU_DEP_3)
	v_add_f32_e32 v206, v110, v114
	v_add_f32_e32 v70, v102, v204
	s_delay_alu instid0(VALU_DEP_2) | instskip(NEXT) | instid1(VALU_DEP_1)
	v_add_f32_e32 v74, v205, v206
	v_add_f32_e32 v65, v70, v74
	s_delay_alu instid0(VALU_DEP_1) | instskip(NEXT) | instid1(VALU_DEP_1)
	v_mul_f32_e32 v65, s21, v65
	v_and_b32_e32 v66, 0x7f800000, v65
	s_delay_alu instid0(VALU_DEP_1) | instskip(NEXT) | instid1(VALU_DEP_1)
	v_cmp_ne_u32_e64 s1, 0x7f800000, v66
                                        ; implicit-def: $vgpr66
                                        ; kill: killed $vgpr66
	s_and_saveexec_b32 s17, s1
	s_delay_alu instid0(SALU_CYCLE_1)
	s_xor_b32 s1, exec_lo, s17
	s_cbranch_execz .LBB38_74
; %bb.73:
	v_bfe_u32 v66, v65, 16, 1
	s_delay_alu instid0(VALU_DEP_1)
	v_add3_u32 v65, v65, v66, 0x7fff
	scratch_store_b32 off, v65, off offset:116 ; 4-byte Folded Spill
                                        ; implicit-def: $vgpr65
.LBB38_74:
	s_and_not1_saveexec_b32 s17, s1
	s_cbranch_execz .LBB38_76
; %bb.75:
	v_and_b32_e32 v66, 0xffff, v65
	v_or_b32_e32 v77, 0x10000, v65
	s_delay_alu instid0(VALU_DEP_2) | instskip(NEXT) | instid1(VALU_DEP_1)
	v_cmp_eq_u32_e64 s1, 0, v66
	v_cndmask_b32_e64 v65, v77, v65, s1
	scratch_store_b32 off, v65, off offset:116 ; 4-byte Folded Spill
.LBB38_76:
	s_or_b32 exec_lo, exec_lo, s17
	v_sub_f32_e32 v65, v91, v95
	v_sub_f32_e32 v99, v99, v103
	;; [unrolled: 1-line block ×6, first 2 shown]
	s_delay_alu instid0(VALU_DEP_4) | instskip(NEXT) | instid1(VALU_DEP_3)
	v_add_f32_e32 v209, v99, v103
	v_add_f32_e32 v210, v107, v111
	s_delay_alu instid0(VALU_DEP_1) | instskip(NEXT) | instid1(VALU_DEP_1)
	v_dual_sub_f32 v118, v67, v71 :: v_dual_add_f32 v75, v209, v210
	v_dual_sub_f32 v126, v83, v87 :: v_dual_add_f32 v207, v118, v122
	s_delay_alu instid0(VALU_DEP_1) | instskip(NEXT) | instid1(VALU_DEP_1)
	v_add_f32_e32 v208, v126, v65
	v_add_f32_e32 v71, v207, v208
	s_delay_alu instid0(VALU_DEP_1) | instskip(NEXT) | instid1(VALU_DEP_1)
	v_add_f32_e32 v66, v71, v75
	v_mul_f32_e32 v66, s21, v66
	s_delay_alu instid0(VALU_DEP_1) | instskip(NEXT) | instid1(VALU_DEP_1)
	v_and_b32_e32 v67, 0x7f800000, v66
	v_cmp_ne_u32_e64 s1, 0x7f800000, v67
                                        ; implicit-def: $vgpr67
                                        ; kill: killed $vgpr67
	s_delay_alu instid0(VALU_DEP_1) | instskip(NEXT) | instid1(SALU_CYCLE_1)
	s_and_saveexec_b32 s17, s1
	s_xor_b32 s1, exec_lo, s17
	s_cbranch_execz .LBB38_78
; %bb.77:
	v_bfe_u32 v67, v66, 16, 1
	s_delay_alu instid0(VALU_DEP_1)
	v_add3_u32 v66, v66, v67, 0x7fff
	scratch_store_b32 off, v66, off offset:120 ; 4-byte Folded Spill
                                        ; implicit-def: $vgpr66
.LBB38_78:
	s_and_not1_saveexec_b32 s17, s1
	s_cbranch_execz .LBB38_80
; %bb.79:
	v_and_b32_e32 v67, 0xffff, v66
	v_or_b32_e32 v77, 0x10000, v66
	s_delay_alu instid0(VALU_DEP_2) | instskip(NEXT) | instid1(VALU_DEP_1)
	v_cmp_eq_u32_e64 s1, 0, v67
	v_cndmask_b32_e64 v66, v77, v66, s1
	scratch_store_b32 off, v66, off offset:120 ; 4-byte Folded Spill
.LBB38_80:
	s_or_b32 exec_lo, exec_lo, s17
	v_sub_f32_e32 v119, v8, v12
	v_sub_f32_e32 v16, v16, v20
	;; [unrolled: 1-line block ×8, first 2 shown]
	v_add_f32_e32 v36, v16, v20
	v_add_f32_e32 v40, v24, v28
	s_delay_alu instid0(VALU_DEP_4) | instskip(NEXT) | instid1(VALU_DEP_4)
	v_add_f32_e32 v44, v123, v127
	v_add_f32_e32 v32, v115, v119
	s_delay_alu instid0(VALU_DEP_2) | instskip(NEXT) | instid1(VALU_DEP_2)
	v_add_f32_e32 v56, v40, v44
	v_add_f32_e32 v52, v32, v36
	s_delay_alu instid0(VALU_DEP_1) | instskip(NEXT) | instid1(VALU_DEP_1)
	v_add_f32_e32 v0, v52, v56
	v_mul_f32_e32 v0, s21, v0
	s_delay_alu instid0(VALU_DEP_1) | instskip(NEXT) | instid1(VALU_DEP_1)
	v_and_b32_e32 v4, 0x7f800000, v0
	v_cmp_ne_u32_e64 s1, 0x7f800000, v4
                                        ; implicit-def: $vgpr4
                                        ; kill: killed $vgpr4
	s_delay_alu instid0(VALU_DEP_1) | instskip(NEXT) | instid1(SALU_CYCLE_1)
	s_and_saveexec_b32 s17, s1
	s_xor_b32 s1, exec_lo, s17
	s_cbranch_execz .LBB38_82
; %bb.81:
	v_bfe_u32 v4, v0, 16, 1
	s_delay_alu instid0(VALU_DEP_1)
	v_add3_u32 v0, v0, v4, 0x7fff
	scratch_store_b32 off, v0, off offset:124 ; 4-byte Folded Spill
                                        ; implicit-def: $vgpr0
.LBB38_82:
	s_and_not1_saveexec_b32 s17, s1
	s_cbranch_execz .LBB38_84
; %bb.83:
	v_and_b32_e32 v4, 0xffff, v0
	v_or_b32_e32 v8, 0x10000, v0
	s_delay_alu instid0(VALU_DEP_2) | instskip(NEXT) | instid1(VALU_DEP_1)
	v_cmp_eq_u32_e64 s1, 0, v4
	v_cndmask_b32_e64 v0, v8, v0, s1
	scratch_store_b32 off, v0, off offset:124 ; 4-byte Folded Spill
.LBB38_84:
	s_or_b32 exec_lo, exec_lo, s17
	v_sub_f32_e32 v66, v1, v5
	v_sub_f32_e32 v67, v9, v13
	;; [unrolled: 1-line block ×6, first 2 shown]
	v_dual_sub_f32 v0, v49, v53 :: v_dual_add_f32 v33, v66, v67
	v_sub_f32_e32 v1, v57, v61
	v_add_f32_e32 v37, v17, v21
	s_delay_alu instid0(VALU_DEP_4) | instskip(NEXT) | instid1(VALU_DEP_3)
	v_add_f32_e32 v41, v25, v29
	v_add_f32_e32 v45, v0, v1
	s_delay_alu instid0(VALU_DEP_3) | instskip(NEXT) | instid1(VALU_DEP_2)
	v_add_f32_e32 v53, v33, v37
	v_add_f32_e32 v57, v41, v45
	s_delay_alu instid0(VALU_DEP_1) | instskip(NEXT) | instid1(VALU_DEP_1)
	v_add_f32_e32 v4, v53, v57
	v_mul_f32_e32 v4, s21, v4
	s_delay_alu instid0(VALU_DEP_1) | instskip(NEXT) | instid1(VALU_DEP_1)
	v_and_b32_e32 v5, 0x7f800000, v4
	v_cmp_ne_u32_e64 s1, 0x7f800000, v5
                                        ; implicit-def: $vgpr5
                                        ; kill: killed $vgpr5
	s_delay_alu instid0(VALU_DEP_1) | instskip(NEXT) | instid1(SALU_CYCLE_1)
	s_and_saveexec_b32 s17, s1
	s_xor_b32 s1, exec_lo, s17
	s_cbranch_execz .LBB38_86
; %bb.85:
	v_bfe_u32 v5, v4, 16, 1
	s_delay_alu instid0(VALU_DEP_1)
	v_add3_u32 v4, v4, v5, 0x7fff
	scratch_store_b32 off, v4, off offset:128 ; 4-byte Folded Spill
                                        ; implicit-def: $vgpr4
.LBB38_86:
	s_and_not1_saveexec_b32 s17, s1
	s_cbranch_execz .LBB38_88
; %bb.87:
	v_and_b32_e32 v5, 0xffff, v4
	v_or_b32_e32 v8, 0x10000, v4
	s_delay_alu instid0(VALU_DEP_2) | instskip(NEXT) | instid1(VALU_DEP_1)
	v_cmp_eq_u32_e64 s1, 0, v5
	v_cndmask_b32_e64 v4, v8, v4, s1
	scratch_store_b32 off, v4, off offset:128 ; 4-byte Folded Spill
.LBB38_88:
	s_or_b32 exec_lo, exec_lo, s17
	v_sub_f32_e32 v2, v2, v6
	v_sub_f32_e32 v4, v10, v14
	;; [unrolled: 1-line block ×8, first 2 shown]
	v_add_f32_e32 v34, v2, v4
	v_add_f32_e32 v38, v18, v22
	;; [unrolled: 1-line block ×3, first 2 shown]
	s_delay_alu instid0(VALU_DEP_4) | instskip(NEXT) | instid1(VALU_DEP_3)
	v_add_f32_e32 v46, v5, v6
	v_add_f32_e32 v54, v34, v38
	s_delay_alu instid0(VALU_DEP_2) | instskip(NEXT) | instid1(VALU_DEP_1)
	v_add_f32_e32 v58, v42, v46
	v_add_f32_e32 v8, v54, v58
	s_delay_alu instid0(VALU_DEP_1) | instskip(NEXT) | instid1(VALU_DEP_1)
	v_mul_f32_e32 v8, s21, v8
	v_and_b32_e32 v9, 0x7f800000, v8
	s_delay_alu instid0(VALU_DEP_1) | instskip(NEXT) | instid1(VALU_DEP_1)
	v_cmp_ne_u32_e64 s1, 0x7f800000, v9
                                        ; implicit-def: $vgpr9
                                        ; kill: killed $vgpr9
	s_and_saveexec_b32 s17, s1
	s_delay_alu instid0(SALU_CYCLE_1)
	s_xor_b32 s1, exec_lo, s17
	s_cbranch_execz .LBB38_90
; %bb.89:
	v_bfe_u32 v9, v8, 16, 1
	s_delay_alu instid0(VALU_DEP_1)
	v_add3_u32 v8, v8, v9, 0x7fff
	scratch_store_b32 off, v8, off offset:132 ; 4-byte Folded Spill
                                        ; implicit-def: $vgpr8
.LBB38_90:
	s_and_not1_saveexec_b32 s17, s1
	s_cbranch_execz .LBB38_92
; %bb.91:
	v_and_b32_e32 v9, 0xffff, v8
	v_or_b32_e32 v10, 0x10000, v8
	s_delay_alu instid0(VALU_DEP_2) | instskip(NEXT) | instid1(VALU_DEP_1)
	v_cmp_eq_u32_e64 s1, 0, v9
	v_cndmask_b32_e64 v8, v10, v8, s1
	scratch_store_b32 off, v8, off offset:132 ; 4-byte Folded Spill
.LBB38_92:
	s_or_b32 exec_lo, exec_lo, s17
	v_sub_f32_e32 v3, v3, v7
	v_sub_f32_e32 v7, v11, v15
	;; [unrolled: 1-line block ×8, first 2 shown]
	v_add_f32_e32 v35, v3, v7
	v_add_f32_e32 v39, v19, v23
	;; [unrolled: 1-line block ×3, first 2 shown]
	s_delay_alu instid0(VALU_DEP_2) | instskip(SKIP_1) | instid1(VALU_DEP_1)
	v_add_f32_e32 v55, v35, v39
	v_add_f32_e32 v47, v8, v9
	;; [unrolled: 1-line block ×3, first 2 shown]
	s_delay_alu instid0(VALU_DEP_1) | instskip(NEXT) | instid1(VALU_DEP_1)
	v_add_f32_e32 v10, v55, v59
	v_mul_f32_e32 v10, s21, v10
	s_delay_alu instid0(VALU_DEP_1) | instskip(NEXT) | instid1(VALU_DEP_1)
	v_and_b32_e32 v11, 0x7f800000, v10
	v_cmp_ne_u32_e64 s1, 0x7f800000, v11
                                        ; implicit-def: $vgpr11
                                        ; kill: killed $vgpr11
	s_delay_alu instid0(VALU_DEP_1) | instskip(NEXT) | instid1(SALU_CYCLE_1)
	s_and_saveexec_b32 s17, s1
	s_xor_b32 s1, exec_lo, s17
	s_cbranch_execz .LBB38_94
; %bb.93:
	v_bfe_u32 v11, v10, 16, 1
	s_delay_alu instid0(VALU_DEP_1)
	v_add3_u32 v10, v10, v11, 0x7fff
	scratch_store_b32 off, v10, off offset:136 ; 4-byte Folded Spill
                                        ; implicit-def: $vgpr10
.LBB38_94:
	s_and_not1_saveexec_b32 s17, s1
	s_cbranch_execz .LBB38_96
; %bb.95:
	v_and_b32_e32 v11, 0xffff, v10
	v_or_b32_e32 v12, 0x10000, v10
	s_delay_alu instid0(VALU_DEP_2) | instskip(NEXT) | instid1(VALU_DEP_1)
	v_cmp_eq_u32_e64 s1, 0, v11
	v_cndmask_b32_e64 v10, v12, v10, s1
	scratch_store_b32 off, v10, off offset:136 ; 4-byte Folded Spill
.LBB38_96:
	s_or_b32 exec_lo, exec_lo, s17
	v_sub_f32_e32 v48, v129, v131
	v_dual_sub_f32 v49, v134, v135 :: v_dual_sub_f32 v50, v136, v137
	s_delay_alu instid0(VALU_DEP_1) | instskip(NEXT) | instid1(VALU_DEP_1)
	v_dual_sub_f32 v51, v138, v139 :: v_dual_add_f32 v60, v48, v49
	v_add_f32_e32 v61, v50, v51
	s_delay_alu instid0(VALU_DEP_1) | instskip(NEXT) | instid1(VALU_DEP_1)
	v_add_f32_e32 v10, v60, v61
	v_mul_f32_e32 v10, s21, v10
	s_delay_alu instid0(VALU_DEP_1) | instskip(NEXT) | instid1(VALU_DEP_1)
	v_and_b32_e32 v11, 0x7f800000, v10
	v_cmp_ne_u32_e64 s1, 0x7f800000, v11
                                        ; implicit-def: $vgpr11
                                        ; kill: killed $vgpr11
	s_delay_alu instid0(VALU_DEP_1) | instskip(NEXT) | instid1(SALU_CYCLE_1)
	s_and_saveexec_b32 s17, s1
	s_xor_b32 s1, exec_lo, s17
	s_cbranch_execz .LBB38_98
; %bb.97:
	v_bfe_u32 v11, v10, 16, 1
	s_delay_alu instid0(VALU_DEP_1)
	v_add3_u32 v10, v10, v11, 0x7fff
	scratch_store_b32 off, v10, off offset:140 ; 4-byte Folded Spill
                                        ; implicit-def: $vgpr10
.LBB38_98:
	s_and_not1_saveexec_b32 s17, s1
	s_cbranch_execz .LBB38_100
; %bb.99:
	v_and_b32_e32 v11, 0xffff, v10
	v_or_b32_e32 v12, 0x10000, v10
	s_delay_alu instid0(VALU_DEP_2) | instskip(NEXT) | instid1(VALU_DEP_1)
	v_cmp_eq_u32_e64 s1, 0, v11
	v_cndmask_b32_e64 v10, v12, v10, s1
	scratch_store_b32 off, v10, off offset:140 ; 4-byte Folded Spill
.LBB38_100:
	s_or_b32 exec_lo, exec_lo, s17
	v_dual_sub_f32 v211, v140, v141 :: v_dual_sub_f32 v212, v142, v143
	v_dual_sub_f32 v213, v144, v145 :: v_dual_sub_f32 v214, v146, v214
	s_delay_alu instid0(VALU_DEP_1) | instskip(NEXT) | instid1(VALU_DEP_1)
	v_dual_add_f32 v62, v211, v212 :: v_dual_add_f32 v63, v213, v214
	v_add_f32_e32 v10, v62, v63
	s_delay_alu instid0(VALU_DEP_1) | instskip(NEXT) | instid1(VALU_DEP_1)
	v_mul_f32_e32 v10, s21, v10
	v_and_b32_e32 v11, 0x7f800000, v10
	s_delay_alu instid0(VALU_DEP_1) | instskip(NEXT) | instid1(VALU_DEP_1)
	v_cmp_ne_u32_e64 s1, 0x7f800000, v11
                                        ; implicit-def: $vgpr11
                                        ; kill: killed $vgpr11
	s_and_saveexec_b32 s17, s1
	s_delay_alu instid0(SALU_CYCLE_1)
	s_xor_b32 s1, exec_lo, s17
	s_cbranch_execz .LBB38_102
; %bb.101:
	v_bfe_u32 v11, v10, 16, 1
	s_delay_alu instid0(VALU_DEP_1)
	v_add3_u32 v10, v10, v11, 0x7fff
	scratch_store_b32 off, v10, off offset:144 ; 4-byte Folded Spill
                                        ; implicit-def: $vgpr10
.LBB38_102:
	s_and_not1_saveexec_b32 s17, s1
	s_cbranch_execz .LBB38_104
; %bb.103:
	v_and_b32_e32 v11, 0xffff, v10
	v_or_b32_e32 v12, 0x10000, v10
	s_delay_alu instid0(VALU_DEP_2) | instskip(NEXT) | instid1(VALU_DEP_1)
	v_cmp_eq_u32_e64 s1, 0, v11
	v_cndmask_b32_e64 v10, v12, v10, s1
	scratch_store_b32 off, v10, off offset:144 ; 4-byte Folded Spill
.LBB38_104:
	s_or_b32 exec_lo, exec_lo, s17
	v_dual_sub_f32 v215, v215, v216 :: v_dual_sub_f32 v216, v217, v218
	v_dual_sub_f32 v217, v219, v220 :: v_dual_sub_f32 v218, v221, v222
	s_delay_alu instid0(VALU_DEP_1) | instskip(NEXT) | instid1(VALU_DEP_1)
	v_dual_add_f32 v77, v215, v216 :: v_dual_add_f32 v78, v217, v218
	v_add_f32_e32 v10, v77, v78
	s_delay_alu instid0(VALU_DEP_1) | instskip(NEXT) | instid1(VALU_DEP_1)
	v_mul_f32_e32 v10, s21, v10
	v_and_b32_e32 v11, 0x7f800000, v10
	s_delay_alu instid0(VALU_DEP_1) | instskip(NEXT) | instid1(VALU_DEP_1)
	v_cmp_ne_u32_e64 s1, 0x7f800000, v11
                                        ; implicit-def: $vgpr11
                                        ; kill: killed $vgpr11
	s_and_saveexec_b32 s17, s1
	s_delay_alu instid0(SALU_CYCLE_1)
	;; [unrolled: 34-line block ×5, first 2 shown]
	s_xor_b32 s1, exec_lo, s17
	s_cbranch_execz .LBB38_118
; %bb.117:
	v_bfe_u32 v11, v10, 16, 1
	s_delay_alu instid0(VALU_DEP_1)
	v_add3_u32 v10, v10, v11, 0x7fff
	scratch_store_b32 off, v10, off offset:160 ; 4-byte Folded Spill
                                        ; implicit-def: $vgpr10
.LBB38_118:
	s_and_not1_saveexec_b32 s17, s1
	s_cbranch_execz .LBB38_120
; %bb.119:
	v_and_b32_e32 v11, 0xffff, v10
	v_or_b32_e32 v12, 0x10000, v10
	s_delay_alu instid0(VALU_DEP_2) | instskip(NEXT) | instid1(VALU_DEP_1)
	v_cmp_eq_u32_e64 s1, 0, v11
	v_cndmask_b32_e64 v10, v12, v10, s1
	scratch_store_b32 off, v10, off offset:160 ; 4-byte Folded Spill
.LBB38_120:
	s_or_b32 exec_lo, exec_lo, s17
	v_dual_sub_f32 v231, v247, v248 :: v_dual_sub_f32 v232, v249, v250
	v_dual_sub_f32 v233, v251, v252 :: v_dual_sub_f32 v234, v253, v254
	s_delay_alu instid0(VALU_DEP_1) | instskip(NEXT) | instid1(VALU_DEP_1)
	v_dual_add_f32 v85, v231, v232 :: v_dual_add_f32 v86, v233, v234
	v_add_f32_e32 v10, v85, v86
	s_delay_alu instid0(VALU_DEP_1) | instskip(NEXT) | instid1(VALU_DEP_1)
	v_mul_f32_e32 v11, s21, v10
	v_and_b32_e32 v10, 0x7f800000, v11
	s_delay_alu instid0(VALU_DEP_1) | instskip(NEXT) | instid1(VALU_DEP_1)
	v_cmp_ne_u32_e64 s1, 0x7f800000, v10
                                        ; implicit-def: $vgpr10
	s_and_saveexec_b32 s17, s1
	s_delay_alu instid0(SALU_CYCLE_1)
	s_xor_b32 s1, exec_lo, s17
; %bb.121:
	v_bfe_u32 v10, v11, 16, 1
	s_delay_alu instid0(VALU_DEP_1)
	v_add3_u32 v10, v11, v10, 0x7fff
                                        ; implicit-def: $vgpr11
; %bb.122:
	s_and_not1_saveexec_b32 s17, s1
; %bb.123:
	v_and_b32_e32 v10, 0xffff, v11
	v_or_b32_e32 v12, 0x10000, v11
	s_delay_alu instid0(VALU_DEP_2) | instskip(NEXT) | instid1(VALU_DEP_1)
	v_cmp_eq_u32_e64 s1, 0, v10
	v_cndmask_b32_e64 v10, v12, v11, s1
; %bb.124:
	s_or_b32 exec_lo, exec_lo, s17
	v_dual_sub_f32 v236, v147, v148 :: v_dual_sub_f32 v237, v149, v150
	v_sub_f32_e32 v238, v151, v132
	s_delay_alu instid0(VALU_DEP_1) | instskip(NEXT) | instid1(VALU_DEP_1)
	v_dual_sub_f32 v235, v255, v133 :: v_dual_add_f32 v88, v237, v238
	v_add_f32_e32 v87, v235, v236
	s_delay_alu instid0(VALU_DEP_1) | instskip(NEXT) | instid1(VALU_DEP_1)
	v_add_f32_e32 v11, v87, v88
	v_mul_f32_e32 v12, s21, v11
	s_delay_alu instid0(VALU_DEP_1) | instskip(NEXT) | instid1(VALU_DEP_1)
	v_and_b32_e32 v11, 0x7f800000, v12
	v_cmp_ne_u32_e64 s1, 0x7f800000, v11
                                        ; implicit-def: $vgpr11
	s_delay_alu instid0(VALU_DEP_1) | instskip(NEXT) | instid1(SALU_CYCLE_1)
	s_and_saveexec_b32 s17, s1
	s_xor_b32 s1, exec_lo, s17
; %bb.125:
	v_bfe_u32 v11, v12, 16, 1
	s_delay_alu instid0(VALU_DEP_1)
	v_add3_u32 v11, v12, v11, 0x7fff
                                        ; implicit-def: $vgpr12
; %bb.126:
	s_and_not1_saveexec_b32 s17, s1
; %bb.127:
	v_and_b32_e32 v11, 0xffff, v12
	v_or_b32_e32 v13, 0x10000, v12
	s_delay_alu instid0(VALU_DEP_2) | instskip(NEXT) | instid1(VALU_DEP_1)
	v_cmp_eq_u32_e64 s1, 0, v11
	v_cndmask_b32_e64 v11, v13, v12, s1
; %bb.128:
	s_or_b32 exec_lo, exec_lo, s17
	v_sub_f32_e32 v241, v96, v100
	v_sub_f32_e32 v242, v104, v108
	s_delay_alu instid0(VALU_DEP_1) | instskip(SKIP_1) | instid1(VALU_DEP_1)
	v_dual_sub_f32 v240, v130, v92 :: v_dual_add_f32 v91, v241, v242
	v_sub_f32_e32 v239, v64, v128
	v_add_f32_e32 v90, v239, v240
	s_delay_alu instid0(VALU_DEP_1) | instskip(NEXT) | instid1(VALU_DEP_1)
	v_add_f32_e32 v12, v90, v91
	v_mul_f32_e32 v13, s21, v12
	s_delay_alu instid0(VALU_DEP_1) | instskip(NEXT) | instid1(VALU_DEP_1)
	v_and_b32_e32 v12, 0x7f800000, v13
	v_cmp_ne_u32_e64 s1, 0x7f800000, v12
                                        ; implicit-def: $vgpr12
	s_delay_alu instid0(VALU_DEP_1) | instskip(NEXT) | instid1(SALU_CYCLE_1)
	s_and_saveexec_b32 s17, s1
	s_xor_b32 s1, exec_lo, s17
; %bb.129:
	v_bfe_u32 v12, v13, 16, 1
	s_delay_alu instid0(VALU_DEP_1)
	v_add3_u32 v12, v13, v12, 0x7fff
                                        ; implicit-def: $vgpr13
; %bb.130:
	s_and_not1_saveexec_b32 s17, s1
; %bb.131:
	v_and_b32_e32 v12, 0xffff, v13
	v_or_b32_e32 v14, 0x10000, v13
	s_delay_alu instid0(VALU_DEP_2) | instskip(NEXT) | instid1(VALU_DEP_1)
	v_cmp_eq_u32_e64 s1, 0, v12
	v_cndmask_b32_e64 v12, v14, v13, s1
; %bb.132:
	s_or_b32 exec_lo, exec_lo, s17
	v_dual_sub_f32 v243, v112, v116 :: v_dual_sub_f32 v246, v105, v109
	v_sub_f32_e32 v245, v97, v101
	s_delay_alu instid0(VALU_DEP_1) | instskip(NEXT) | instid1(VALU_DEP_1)
	v_dual_sub_f32 v244, v120, v93 :: v_dual_add_f32 v93, v245, v246
	v_add_f32_e32 v92, v243, v244
	s_delay_alu instid0(VALU_DEP_1) | instskip(NEXT) | instid1(VALU_DEP_1)
	v_add_f32_e32 v13, v92, v93
	v_mul_f32_e32 v14, s21, v13
	s_delay_alu instid0(VALU_DEP_1) | instskip(NEXT) | instid1(VALU_DEP_1)
	v_and_b32_e32 v13, 0x7f800000, v14
	v_cmp_ne_u32_e64 s1, 0x7f800000, v13
                                        ; implicit-def: $vgpr13
	s_delay_alu instid0(VALU_DEP_1) | instskip(NEXT) | instid1(SALU_CYCLE_1)
	s_and_saveexec_b32 s17, s1
	s_xor_b32 s1, exec_lo, s17
; %bb.133:
	v_bfe_u32 v13, v14, 16, 1
	s_delay_alu instid0(VALU_DEP_1)
	v_add3_u32 v13, v14, v13, 0x7fff
                                        ; implicit-def: $vgpr14
; %bb.134:
	s_and_not1_saveexec_b32 s17, s1
; %bb.135:
	v_and_b32_e32 v13, 0xffff, v14
	v_or_b32_e32 v15, 0x10000, v14
	s_delay_alu instid0(VALU_DEP_2) | instskip(NEXT) | instid1(VALU_DEP_1)
	v_cmp_eq_u32_e64 s1, 0, v13
	v_cndmask_b32_e64 v13, v15, v14, s1
; %bb.136:
	s_or_b32 exec_lo, exec_lo, s17
	v_dual_sub_f32 v247, v113, v117 :: v_dual_sub_f32 v250, v110, v114
	v_sub_f32_e32 v248, v121, v94
	s_delay_alu instid0(VALU_DEP_1) | instskip(NEXT) | instid1(VALU_DEP_1)
	v_dual_sub_f32 v249, v98, v106 :: v_dual_add_f32 v94, v247, v248
	v_add_f32_e32 v95, v249, v250
	s_delay_alu instid0(VALU_DEP_1) | instskip(NEXT) | instid1(VALU_DEP_1)
	v_add_f32_e32 v14, v94, v95
	v_mul_f32_e32 v15, s21, v14
	s_delay_alu instid0(VALU_DEP_1) | instskip(NEXT) | instid1(VALU_DEP_1)
	v_and_b32_e32 v14, 0x7f800000, v15
	v_cmp_ne_u32_e64 s1, 0x7f800000, v14
                                        ; implicit-def: $vgpr14
	s_delay_alu instid0(VALU_DEP_1) | instskip(NEXT) | instid1(SALU_CYCLE_1)
	s_and_saveexec_b32 s17, s1
	s_xor_b32 s1, exec_lo, s17
; %bb.137:
	v_bfe_u32 v14, v15, 16, 1
	s_delay_alu instid0(VALU_DEP_1)
	v_add3_u32 v14, v15, v14, 0x7fff
                                        ; implicit-def: $vgpr15
; %bb.138:
	s_and_not1_saveexec_b32 s17, s1
; %bb.139:
	v_and_b32_e32 v14, 0xffff, v15
	v_or_b32_e32 v64, 0x10000, v15
	s_delay_alu instid0(VALU_DEP_2) | instskip(NEXT) | instid1(VALU_DEP_1)
	v_cmp_eq_u32_e64 s1, 0, v14
	v_cndmask_b32_e64 v14, v64, v15, s1
; %bb.140:
	s_or_b32 exec_lo, exec_lo, s17
	v_dual_sub_f32 v251, v118, v122 :: v_dual_sub_f32 v254, v107, v111
	v_dual_sub_f32 v252, v126, v65 :: v_dual_sub_f32 v253, v99, v103
	s_delay_alu instid0(VALU_DEP_1) | instskip(NEXT) | instid1(VALU_DEP_1)
	v_dual_add_f32 v96, v251, v252 :: v_dual_add_f32 v97, v253, v254
	v_add_f32_e32 v15, v96, v97
	s_delay_alu instid0(VALU_DEP_1) | instskip(NEXT) | instid1(VALU_DEP_1)
	v_mul_f32_e32 v64, s21, v15
	v_and_b32_e32 v15, 0x7f800000, v64
	s_delay_alu instid0(VALU_DEP_1) | instskip(NEXT) | instid1(VALU_DEP_1)
	v_cmp_ne_u32_e64 s1, 0x7f800000, v15
                                        ; implicit-def: $vgpr15
	s_and_saveexec_b32 s17, s1
	s_delay_alu instid0(SALU_CYCLE_1)
	s_xor_b32 s1, exec_lo, s17
; %bb.141:
	v_bfe_u32 v15, v64, 16, 1
	s_delay_alu instid0(VALU_DEP_1)
	v_add3_u32 v15, v64, v15, 0x7fff
                                        ; implicit-def: $vgpr64
; %bb.142:
	s_and_not1_saveexec_b32 s17, s1
; %bb.143:
	v_and_b32_e32 v15, 0xffff, v64
	v_or_b32_e32 v65, 0x10000, v64
	s_delay_alu instid0(VALU_DEP_2) | instskip(NEXT) | instid1(VALU_DEP_1)
	v_cmp_eq_u32_e64 s1, 0, v15
	v_cndmask_b32_e64 v15, v65, v64, s1
; %bb.144:
	s_or_b32 exec_lo, exec_lo, s17
	v_dual_sub_f32 v255, v115, v119 :: v_dual_sub_f32 v134, v16, v20
	v_dual_sub_f32 v135, v24, v28 :: v_dual_sub_f32 v136, v123, v127
	s_delay_alu instid0(VALU_DEP_2) | instskip(NEXT) | instid1(VALU_DEP_2)
	v_add_f32_e32 v98, v255, v134
	v_add_f32_e32 v99, v135, v136
	s_delay_alu instid0(VALU_DEP_1) | instskip(NEXT) | instid1(VALU_DEP_1)
	v_add_f32_e32 v16, v98, v99
	v_mul_f32_e32 v20, s21, v16
	s_delay_alu instid0(VALU_DEP_1) | instskip(NEXT) | instid1(VALU_DEP_1)
	v_and_b32_e32 v16, 0x7f800000, v20
	v_cmp_ne_u32_e64 s1, 0x7f800000, v16
                                        ; implicit-def: $vgpr16
	s_delay_alu instid0(VALU_DEP_1) | instskip(NEXT) | instid1(SALU_CYCLE_1)
	s_and_saveexec_b32 s17, s1
	s_xor_b32 s1, exec_lo, s17
; %bb.145:
	v_bfe_u32 v16, v20, 16, 1
	s_delay_alu instid0(VALU_DEP_1)
	v_add3_u32 v16, v20, v16, 0x7fff
                                        ; implicit-def: $vgpr20
; %bb.146:
	s_and_not1_saveexec_b32 s17, s1
; %bb.147:
	v_and_b32_e32 v16, 0xffff, v20
	v_or_b32_e32 v24, 0x10000, v20
	s_delay_alu instid0(VALU_DEP_2) | instskip(NEXT) | instid1(VALU_DEP_1)
	v_cmp_eq_u32_e64 s1, 0, v16
	v_cndmask_b32_e64 v16, v24, v20, s1
; %bb.148:
	s_or_b32 exec_lo, exec_lo, s17
	v_dual_sub_f32 v137, v66, v67 :: v_dual_sub_f32 v138, v17, v21
	v_sub_f32_e32 v139, v25, v29
	v_sub_f32_e32 v140, v0, v1
                                        ; implicit-def: $vgpr17
	s_delay_alu instid0(VALU_DEP_1) | instskip(NEXT) | instid1(VALU_DEP_1)
	v_dual_add_f32 v100, v137, v138 :: v_dual_add_f32 v101, v139, v140
	v_add_f32_e32 v0, v100, v101
	s_delay_alu instid0(VALU_DEP_1) | instskip(NEXT) | instid1(VALU_DEP_1)
	v_mul_f32_e32 v0, s21, v0
	v_and_b32_e32 v1, 0x7f800000, v0
	s_delay_alu instid0(VALU_DEP_1) | instskip(NEXT) | instid1(VALU_DEP_1)
	v_cmp_ne_u32_e64 s1, 0x7f800000, v1
	s_and_saveexec_b32 s17, s1
	s_delay_alu instid0(SALU_CYCLE_1)
	s_xor_b32 s1, exec_lo, s17
; %bb.149:
	v_bfe_u32 v1, v0, 16, 1
	s_delay_alu instid0(VALU_DEP_1)
	v_add3_u32 v17, v0, v1, 0x7fff
                                        ; implicit-def: $vgpr0
; %bb.150:
	s_and_not1_saveexec_b32 s17, s1
; %bb.151:
	v_and_b32_e32 v1, 0xffff, v0
	v_or_b32_e32 v17, 0x10000, v0
	s_delay_alu instid0(VALU_DEP_2) | instskip(NEXT) | instid1(VALU_DEP_1)
	v_cmp_eq_u32_e64 s1, 0, v1
	v_cndmask_b32_e64 v17, v17, v0, s1
; %bb.152:
	s_or_b32 exec_lo, exec_lo, s17
	v_dual_sub_f32 v141, v2, v4 :: v_dual_sub_f32 v144, v5, v6
	v_sub_f32_e32 v142, v18, v22
                                        ; implicit-def: $vgpr18
	s_delay_alu instid0(VALU_DEP_1) | instskip(SKIP_1) | instid1(VALU_DEP_1)
	v_add_f32_e32 v103, v141, v142
	v_sub_f32_e32 v143, v26, v30
	v_add_f32_e32 v104, v143, v144
	s_delay_alu instid0(VALU_DEP_1) | instskip(NEXT) | instid1(VALU_DEP_1)
	v_add_f32_e32 v0, v103, v104
	v_mul_f32_e32 v0, s21, v0
	s_delay_alu instid0(VALU_DEP_1) | instskip(NEXT) | instid1(VALU_DEP_1)
	v_and_b32_e32 v1, 0x7f800000, v0
	v_cmp_ne_u32_e64 s1, 0x7f800000, v1
	s_delay_alu instid0(VALU_DEP_1) | instskip(NEXT) | instid1(SALU_CYCLE_1)
	s_and_saveexec_b32 s17, s1
	s_xor_b32 s1, exec_lo, s17
; %bb.153:
	v_bfe_u32 v1, v0, 16, 1
	s_delay_alu instid0(VALU_DEP_1)
	v_add3_u32 v18, v0, v1, 0x7fff
                                        ; implicit-def: $vgpr0
; %bb.154:
	s_and_not1_saveexec_b32 s17, s1
; %bb.155:
	v_and_b32_e32 v1, 0xffff, v0
	v_or_b32_e32 v2, 0x10000, v0
	s_delay_alu instid0(VALU_DEP_2) | instskip(NEXT) | instid1(VALU_DEP_1)
	v_cmp_eq_u32_e64 s1, 0, v1
	v_cndmask_b32_e64 v18, v2, v0, s1
; %bb.156:
	s_or_b32 exec_lo, exec_lo, s17
	v_dual_sub_f32 v146, v19, v23 :: v_dual_sub_f32 v131, v8, v9
	v_sub_f32_e32 v129, v27, v31
                                        ; implicit-def: $vgpr19
	s_delay_alu instid0(VALU_DEP_1) | instskip(SKIP_1) | instid1(VALU_DEP_1)
	v_add_f32_e32 v106, v129, v131
	v_sub_f32_e32 v145, v3, v7
	v_add_f32_e32 v105, v145, v146
	s_delay_alu instid0(VALU_DEP_1) | instskip(NEXT) | instid1(VALU_DEP_1)
	v_add_f32_e32 v0, v105, v106
	v_mul_f32_e32 v0, s21, v0
	s_delay_alu instid0(VALU_DEP_1) | instskip(NEXT) | instid1(VALU_DEP_1)
	v_and_b32_e32 v1, 0x7f800000, v0
	v_cmp_ne_u32_e64 s1, 0x7f800000, v1
	s_delay_alu instid0(VALU_DEP_1) | instskip(NEXT) | instid1(SALU_CYCLE_1)
	s_and_saveexec_b32 s17, s1
	s_xor_b32 s1, exec_lo, s17
; %bb.157:
	v_bfe_u32 v1, v0, 16, 1
	s_delay_alu instid0(VALU_DEP_1)
	v_add3_u32 v19, v0, v1, 0x7fff
                                        ; implicit-def: $vgpr0
; %bb.158:
	s_and_not1_saveexec_b32 s17, s1
; %bb.159:
	v_and_b32_e32 v1, 0xffff, v0
	v_or_b32_e32 v2, 0x10000, v0
	s_delay_alu instid0(VALU_DEP_2) | instskip(NEXT) | instid1(VALU_DEP_1)
	v_cmp_eq_u32_e64 s1, 0, v1
	v_cndmask_b32_e64 v19, v2, v0, s1
; %bb.160:
	s_or_b32 exec_lo, exec_lo, s17
	v_dual_sub_f32 v107, v168, v169 :: v_dual_sub_f32 v108, v170, v171
                                        ; implicit-def: $vgpr20
	s_delay_alu instid0(VALU_DEP_1) | instskip(NEXT) | instid1(VALU_DEP_1)
	v_add_f32_e32 v0, v107, v108
	v_mul_f32_e32 v0, s21, v0
	s_delay_alu instid0(VALU_DEP_1) | instskip(NEXT) | instid1(VALU_DEP_1)
	v_and_b32_e32 v1, 0x7f800000, v0
	v_cmp_ne_u32_e64 s1, 0x7f800000, v1
	s_delay_alu instid0(VALU_DEP_1) | instskip(NEXT) | instid1(SALU_CYCLE_1)
	s_and_saveexec_b32 s17, s1
	s_xor_b32 s1, exec_lo, s17
; %bb.161:
	v_bfe_u32 v1, v0, 16, 1
	s_delay_alu instid0(VALU_DEP_1)
	v_add3_u32 v20, v0, v1, 0x7fff
                                        ; implicit-def: $vgpr0
; %bb.162:
	s_and_not1_saveexec_b32 s17, s1
; %bb.163:
	v_and_b32_e32 v1, 0xffff, v0
	v_or_b32_e32 v2, 0x10000, v0
	s_delay_alu instid0(VALU_DEP_2) | instskip(NEXT) | instid1(VALU_DEP_1)
	v_cmp_eq_u32_e64 s1, 0, v1
	v_cndmask_b32_e64 v20, v2, v0, s1
; %bb.164:
	s_or_b32 exec_lo, exec_lo, s17
	v_dual_sub_f32 v109, v172, v173 :: v_dual_sub_f32 v110, v174, v175
                                        ; implicit-def: $vgpr21
	s_delay_alu instid0(VALU_DEP_1) | instskip(NEXT) | instid1(VALU_DEP_1)
	v_add_f32_e32 v0, v109, v110
	v_mul_f32_e32 v0, s21, v0
	s_delay_alu instid0(VALU_DEP_1) | instskip(NEXT) | instid1(VALU_DEP_1)
	v_and_b32_e32 v1, 0x7f800000, v0
	v_cmp_ne_u32_e64 s1, 0x7f800000, v1
	s_delay_alu instid0(VALU_DEP_1) | instskip(NEXT) | instid1(SALU_CYCLE_1)
	s_and_saveexec_b32 s17, s1
	s_xor_b32 s1, exec_lo, s17
; %bb.165:
	v_bfe_u32 v1, v0, 16, 1
	s_delay_alu instid0(VALU_DEP_1)
	v_add3_u32 v21, v0, v1, 0x7fff
                                        ; implicit-def: $vgpr0
; %bb.166:
	s_and_not1_saveexec_b32 s17, s1
; %bb.167:
	v_and_b32_e32 v1, 0xffff, v0
	v_or_b32_e32 v2, 0x10000, v0
	s_delay_alu instid0(VALU_DEP_2) | instskip(NEXT) | instid1(VALU_DEP_1)
	v_cmp_eq_u32_e64 s1, 0, v1
	v_cndmask_b32_e64 v21, v2, v0, s1
; %bb.168:
	s_or_b32 exec_lo, exec_lo, s17
	v_dual_sub_f32 v111, v176, v177 :: v_dual_sub_f32 v112, v178, v179
                                        ; implicit-def: $vgpr22
	s_delay_alu instid0(VALU_DEP_1) | instskip(NEXT) | instid1(VALU_DEP_1)
	v_add_f32_e32 v0, v111, v112
	v_mul_f32_e32 v0, s21, v0
	s_delay_alu instid0(VALU_DEP_1) | instskip(NEXT) | instid1(VALU_DEP_1)
	v_and_b32_e32 v1, 0x7f800000, v0
	v_cmp_ne_u32_e64 s1, 0x7f800000, v1
	s_delay_alu instid0(VALU_DEP_1) | instskip(NEXT) | instid1(SALU_CYCLE_1)
	s_and_saveexec_b32 s17, s1
	s_xor_b32 s1, exec_lo, s17
; %bb.169:
	v_bfe_u32 v1, v0, 16, 1
	s_delay_alu instid0(VALU_DEP_1)
	v_add3_u32 v22, v0, v1, 0x7fff
                                        ; implicit-def: $vgpr0
; %bb.170:
	s_and_not1_saveexec_b32 s17, s1
; %bb.171:
	v_and_b32_e32 v1, 0xffff, v0
	v_or_b32_e32 v2, 0x10000, v0
	s_delay_alu instid0(VALU_DEP_2) | instskip(NEXT) | instid1(VALU_DEP_1)
	v_cmp_eq_u32_e64 s1, 0, v1
	v_cndmask_b32_e64 v22, v2, v0, s1
; %bb.172:
	s_or_b32 exec_lo, exec_lo, s17
	v_dual_sub_f32 v113, v180, v181 :: v_dual_sub_f32 v114, v182, v183
                                        ; implicit-def: $vgpr23
	s_delay_alu instid0(VALU_DEP_1) | instskip(NEXT) | instid1(VALU_DEP_1)
	v_add_f32_e32 v0, v113, v114
	v_mul_f32_e32 v0, s21, v0
	s_delay_alu instid0(VALU_DEP_1) | instskip(NEXT) | instid1(VALU_DEP_1)
	v_and_b32_e32 v1, 0x7f800000, v0
	v_cmp_ne_u32_e64 s1, 0x7f800000, v1
	s_delay_alu instid0(VALU_DEP_1) | instskip(NEXT) | instid1(SALU_CYCLE_1)
	s_and_saveexec_b32 s17, s1
	s_xor_b32 s1, exec_lo, s17
; %bb.173:
	v_bfe_u32 v1, v0, 16, 1
	s_delay_alu instid0(VALU_DEP_1)
	v_add3_u32 v23, v0, v1, 0x7fff
                                        ; implicit-def: $vgpr0
; %bb.174:
	s_and_not1_saveexec_b32 s17, s1
; %bb.175:
	v_and_b32_e32 v1, 0xffff, v0
	v_or_b32_e32 v2, 0x10000, v0
	s_delay_alu instid0(VALU_DEP_2) | instskip(NEXT) | instid1(VALU_DEP_1)
	v_cmp_eq_u32_e64 s1, 0, v1
	v_cndmask_b32_e64 v23, v2, v0, s1
; %bb.176:
	s_or_b32 exec_lo, exec_lo, s17
	v_dual_sub_f32 v115, v184, v185 :: v_dual_sub_f32 v116, v186, v187
                                        ; implicit-def: $vgpr24
	s_delay_alu instid0(VALU_DEP_1) | instskip(NEXT) | instid1(VALU_DEP_1)
	v_add_f32_e32 v0, v115, v116
	v_mul_f32_e32 v0, s21, v0
	s_delay_alu instid0(VALU_DEP_1) | instskip(NEXT) | instid1(VALU_DEP_1)
	v_and_b32_e32 v1, 0x7f800000, v0
	v_cmp_ne_u32_e64 s1, 0x7f800000, v1
	s_delay_alu instid0(VALU_DEP_1) | instskip(NEXT) | instid1(SALU_CYCLE_1)
	s_and_saveexec_b32 s17, s1
	s_xor_b32 s1, exec_lo, s17
; %bb.177:
	v_bfe_u32 v1, v0, 16, 1
	s_delay_alu instid0(VALU_DEP_1)
	v_add3_u32 v24, v0, v1, 0x7fff
                                        ; implicit-def: $vgpr0
; %bb.178:
	s_and_not1_saveexec_b32 s17, s1
; %bb.179:
	v_and_b32_e32 v1, 0xffff, v0
	v_or_b32_e32 v2, 0x10000, v0
	s_delay_alu instid0(VALU_DEP_2) | instskip(NEXT) | instid1(VALU_DEP_1)
	v_cmp_eq_u32_e64 s1, 0, v1
	v_cndmask_b32_e64 v24, v2, v0, s1
; %bb.180:
	s_or_b32 exec_lo, exec_lo, s17
	v_dual_sub_f32 v117, v188, v189 :: v_dual_sub_f32 v118, v190, v191
                                        ; implicit-def: $vgpr25
	s_delay_alu instid0(VALU_DEP_1) | instskip(NEXT) | instid1(VALU_DEP_1)
	v_add_f32_e32 v0, v117, v118
	v_mul_f32_e32 v0, s21, v0
	s_delay_alu instid0(VALU_DEP_1) | instskip(NEXT) | instid1(VALU_DEP_1)
	v_and_b32_e32 v1, 0x7f800000, v0
	v_cmp_ne_u32_e64 s1, 0x7f800000, v1
	s_delay_alu instid0(VALU_DEP_1) | instskip(NEXT) | instid1(SALU_CYCLE_1)
	s_and_saveexec_b32 s17, s1
	s_xor_b32 s1, exec_lo, s17
; %bb.181:
	v_bfe_u32 v1, v0, 16, 1
	s_delay_alu instid0(VALU_DEP_1)
	v_add3_u32 v25, v0, v1, 0x7fff
                                        ; implicit-def: $vgpr0
; %bb.182:
	s_and_not1_saveexec_b32 s17, s1
; %bb.183:
	v_and_b32_e32 v1, 0xffff, v0
	v_or_b32_e32 v2, 0x10000, v0
	s_delay_alu instid0(VALU_DEP_2) | instskip(NEXT) | instid1(VALU_DEP_1)
	v_cmp_eq_u32_e64 s1, 0, v1
	v_cndmask_b32_e64 v25, v2, v0, s1
; %bb.184:
	s_or_b32 exec_lo, exec_lo, s17
	v_dual_sub_f32 v119, v192, v193 :: v_dual_sub_f32 v120, v194, v195
                                        ; implicit-def: $vgpr26
	s_delay_alu instid0(VALU_DEP_1) | instskip(NEXT) | instid1(VALU_DEP_1)
	v_add_f32_e32 v0, v119, v120
	v_mul_f32_e32 v0, s21, v0
	s_delay_alu instid0(VALU_DEP_1) | instskip(NEXT) | instid1(VALU_DEP_1)
	v_and_b32_e32 v1, 0x7f800000, v0
	v_cmp_ne_u32_e64 s1, 0x7f800000, v1
	s_delay_alu instid0(VALU_DEP_1) | instskip(NEXT) | instid1(SALU_CYCLE_1)
	s_and_saveexec_b32 s17, s1
	s_xor_b32 s1, exec_lo, s17
; %bb.185:
	v_bfe_u32 v1, v0, 16, 1
	s_delay_alu instid0(VALU_DEP_1)
	v_add3_u32 v26, v0, v1, 0x7fff
                                        ; implicit-def: $vgpr0
; %bb.186:
	s_and_not1_saveexec_b32 s17, s1
; %bb.187:
	v_and_b32_e32 v1, 0xffff, v0
	v_or_b32_e32 v2, 0x10000, v0
	s_delay_alu instid0(VALU_DEP_2) | instskip(NEXT) | instid1(VALU_DEP_1)
	v_cmp_eq_u32_e64 s1, 0, v1
	v_cndmask_b32_e64 v26, v2, v0, s1
; %bb.188:
	s_or_b32 exec_lo, exec_lo, s17
	v_dual_sub_f32 v121, v196, v197 :: v_dual_sub_f32 v122, v198, v199
                                        ; implicit-def: $vgpr27
	s_delay_alu instid0(VALU_DEP_1) | instskip(NEXT) | instid1(VALU_DEP_1)
	v_add_f32_e32 v0, v121, v122
	v_mul_f32_e32 v0, s21, v0
	s_delay_alu instid0(VALU_DEP_1) | instskip(NEXT) | instid1(VALU_DEP_1)
	v_and_b32_e32 v1, 0x7f800000, v0
	v_cmp_ne_u32_e64 s1, 0x7f800000, v1
	s_delay_alu instid0(VALU_DEP_1) | instskip(NEXT) | instid1(SALU_CYCLE_1)
	s_and_saveexec_b32 s17, s1
	s_xor_b32 s1, exec_lo, s17
; %bb.189:
	v_bfe_u32 v1, v0, 16, 1
	s_delay_alu instid0(VALU_DEP_1)
	v_add3_u32 v27, v0, v1, 0x7fff
                                        ; implicit-def: $vgpr0
; %bb.190:
	s_and_not1_saveexec_b32 s17, s1
; %bb.191:
	v_and_b32_e32 v1, 0xffff, v0
	v_or_b32_e32 v2, 0x10000, v0
	s_delay_alu instid0(VALU_DEP_2) | instskip(NEXT) | instid1(VALU_DEP_1)
	v_cmp_eq_u32_e64 s1, 0, v1
	v_cndmask_b32_e64 v27, v2, v0, s1
; %bb.192:
	s_or_b32 exec_lo, exec_lo, s17
	v_sub_f32_e32 v123, v76, v124
	v_sub_f32_e32 v124, v200, v201
                                        ; implicit-def: $vgpr28
	s_delay_alu instid0(VALU_DEP_1) | instskip(NEXT) | instid1(VALU_DEP_1)
	v_add_f32_e32 v0, v123, v124
	v_mul_f32_e32 v0, s21, v0
	s_delay_alu instid0(VALU_DEP_1) | instskip(NEXT) | instid1(VALU_DEP_1)
	v_and_b32_e32 v1, 0x7f800000, v0
	v_cmp_ne_u32_e64 s1, 0x7f800000, v1
	s_delay_alu instid0(VALU_DEP_1) | instskip(NEXT) | instid1(SALU_CYCLE_1)
	s_and_saveexec_b32 s17, s1
	s_xor_b32 s1, exec_lo, s17
; %bb.193:
	v_bfe_u32 v1, v0, 16, 1
	s_delay_alu instid0(VALU_DEP_1)
	v_add3_u32 v28, v0, v1, 0x7fff
                                        ; implicit-def: $vgpr0
; %bb.194:
	s_and_not1_saveexec_b32 s17, s1
; %bb.195:
	v_and_b32_e32 v1, 0xffff, v0
	v_or_b32_e32 v2, 0x10000, v0
	s_delay_alu instid0(VALU_DEP_2) | instskip(NEXT) | instid1(VALU_DEP_1)
	v_cmp_eq_u32_e64 s1, 0, v1
	v_cndmask_b32_e64 v28, v2, v0, s1
; %bb.196:
	s_or_b32 exec_lo, exec_lo, s17
	v_dual_sub_f32 v125, v89, v125 :: v_dual_sub_f32 v126, v202, v203
                                        ; implicit-def: $vgpr29
	s_delay_alu instid0(VALU_DEP_1) | instskip(NEXT) | instid1(VALU_DEP_1)
	v_add_f32_e32 v0, v125, v126
	v_mul_f32_e32 v0, s21, v0
	s_delay_alu instid0(VALU_DEP_1) | instskip(NEXT) | instid1(VALU_DEP_1)
	v_and_b32_e32 v1, 0x7f800000, v0
	v_cmp_ne_u32_e64 s1, 0x7f800000, v1
	s_delay_alu instid0(VALU_DEP_1) | instskip(NEXT) | instid1(SALU_CYCLE_1)
	s_and_saveexec_b32 s17, s1
	s_xor_b32 s1, exec_lo, s17
; %bb.197:
	v_bfe_u32 v1, v0, 16, 1
	s_delay_alu instid0(VALU_DEP_1)
	v_add3_u32 v29, v0, v1, 0x7fff
                                        ; implicit-def: $vgpr0
; %bb.198:
	s_and_not1_saveexec_b32 s17, s1
; %bb.199:
	v_and_b32_e32 v1, 0xffff, v0
	v_or_b32_e32 v2, 0x10000, v0
	s_delay_alu instid0(VALU_DEP_2) | instskip(NEXT) | instid1(VALU_DEP_1)
	v_cmp_eq_u32_e64 s1, 0, v1
	v_cndmask_b32_e64 v29, v2, v0, s1
; %bb.200:
	s_or_b32 exec_lo, exec_lo, s17
	v_dual_sub_f32 v127, v102, v204 :: v_dual_sub_f32 v168, v205, v206
                                        ; implicit-def: $vgpr30
	s_delay_alu instid0(VALU_DEP_1) | instskip(NEXT) | instid1(VALU_DEP_1)
	v_add_f32_e32 v0, v127, v168
	v_mul_f32_e32 v0, s21, v0
	s_delay_alu instid0(VALU_DEP_1) | instskip(NEXT) | instid1(VALU_DEP_1)
	v_and_b32_e32 v1, 0x7f800000, v0
	v_cmp_ne_u32_e64 s1, 0x7f800000, v1
	s_delay_alu instid0(VALU_DEP_1) | instskip(NEXT) | instid1(SALU_CYCLE_1)
	s_and_saveexec_b32 s17, s1
	s_xor_b32 s1, exec_lo, s17
; %bb.201:
	v_bfe_u32 v1, v0, 16, 1
	s_delay_alu instid0(VALU_DEP_1)
	v_add3_u32 v30, v0, v1, 0x7fff
                                        ; implicit-def: $vgpr0
; %bb.202:
	s_and_not1_saveexec_b32 s17, s1
; %bb.203:
	v_and_b32_e32 v1, 0xffff, v0
	v_or_b32_e32 v2, 0x10000, v0
	s_delay_alu instid0(VALU_DEP_2) | instskip(NEXT) | instid1(VALU_DEP_1)
	v_cmp_eq_u32_e64 s1, 0, v1
	v_cndmask_b32_e64 v30, v2, v0, s1
; %bb.204:
	s_or_b32 exec_lo, exec_lo, s17
	v_dual_sub_f32 v169, v207, v208 :: v_dual_sub_f32 v170, v209, v210
                                        ; implicit-def: $vgpr31
	s_delay_alu instid0(VALU_DEP_1) | instskip(NEXT) | instid1(VALU_DEP_1)
	v_add_f32_e32 v0, v169, v170
	v_mul_f32_e32 v0, s21, v0
	s_delay_alu instid0(VALU_DEP_1) | instskip(NEXT) | instid1(VALU_DEP_1)
	v_and_b32_e32 v1, 0x7f800000, v0
	v_cmp_ne_u32_e64 s1, 0x7f800000, v1
	s_delay_alu instid0(VALU_DEP_1) | instskip(NEXT) | instid1(SALU_CYCLE_1)
	s_and_saveexec_b32 s17, s1
	s_xor_b32 s1, exec_lo, s17
; %bb.205:
	v_bfe_u32 v1, v0, 16, 1
	s_delay_alu instid0(VALU_DEP_1)
	v_add3_u32 v31, v0, v1, 0x7fff
                                        ; implicit-def: $vgpr0
; %bb.206:
	s_and_not1_saveexec_b32 s17, s1
; %bb.207:
	v_and_b32_e32 v1, 0xffff, v0
	v_or_b32_e32 v2, 0x10000, v0
	s_delay_alu instid0(VALU_DEP_2) | instskip(NEXT) | instid1(VALU_DEP_1)
	v_cmp_eq_u32_e64 s1, 0, v1
	v_cndmask_b32_e64 v31, v2, v0, s1
; %bb.208:
	s_or_b32 exec_lo, exec_lo, s17
	v_sub_f32_e32 v171, v32, v36
	v_sub_f32_e32 v172, v40, v44
                                        ; implicit-def: $vgpr32
	s_delay_alu instid0(VALU_DEP_1) | instskip(NEXT) | instid1(VALU_DEP_1)
	v_add_f32_e32 v0, v171, v172
	v_mul_f32_e32 v0, s21, v0
	s_delay_alu instid0(VALU_DEP_1) | instskip(NEXT) | instid1(VALU_DEP_1)
	v_and_b32_e32 v1, 0x7f800000, v0
	v_cmp_ne_u32_e64 s1, 0x7f800000, v1
	s_delay_alu instid0(VALU_DEP_1) | instskip(NEXT) | instid1(SALU_CYCLE_1)
	s_and_saveexec_b32 s17, s1
	s_xor_b32 s1, exec_lo, s17
; %bb.209:
	v_bfe_u32 v1, v0, 16, 1
	s_delay_alu instid0(VALU_DEP_1)
	v_add3_u32 v32, v0, v1, 0x7fff
                                        ; implicit-def: $vgpr0
; %bb.210:
	s_and_not1_saveexec_b32 s17, s1
; %bb.211:
	v_and_b32_e32 v1, 0xffff, v0
	v_or_b32_e32 v2, 0x10000, v0
	s_delay_alu instid0(VALU_DEP_2) | instskip(NEXT) | instid1(VALU_DEP_1)
	v_cmp_eq_u32_e64 s1, 0, v1
	v_cndmask_b32_e64 v32, v2, v0, s1
; %bb.212:
	s_or_b32 exec_lo, exec_lo, s17
	v_sub_f32_e32 v173, v33, v37
	v_sub_f32_e32 v174, v41, v45
                                        ; implicit-def: $vgpr33
	s_delay_alu instid0(VALU_DEP_1) | instskip(NEXT) | instid1(VALU_DEP_1)
	v_add_f32_e32 v0, v173, v174
	v_mul_f32_e32 v0, s21, v0
	s_delay_alu instid0(VALU_DEP_1) | instskip(NEXT) | instid1(VALU_DEP_1)
	v_and_b32_e32 v1, 0x7f800000, v0
	v_cmp_ne_u32_e64 s1, 0x7f800000, v1
	s_delay_alu instid0(VALU_DEP_1) | instskip(NEXT) | instid1(SALU_CYCLE_1)
	s_and_saveexec_b32 s17, s1
	s_xor_b32 s1, exec_lo, s17
; %bb.213:
	v_bfe_u32 v1, v0, 16, 1
	s_delay_alu instid0(VALU_DEP_1)
	v_add3_u32 v33, v0, v1, 0x7fff
                                        ; implicit-def: $vgpr0
; %bb.214:
	s_and_not1_saveexec_b32 s17, s1
; %bb.215:
	v_and_b32_e32 v1, 0xffff, v0
	v_or_b32_e32 v2, 0x10000, v0
	s_delay_alu instid0(VALU_DEP_2) | instskip(NEXT) | instid1(VALU_DEP_1)
	v_cmp_eq_u32_e64 s1, 0, v1
	v_cndmask_b32_e64 v33, v2, v0, s1
; %bb.216:
	s_or_b32 exec_lo, exec_lo, s17
	v_sub_f32_e32 v175, v34, v38
	v_sub_f32_e32 v176, v42, v46
                                        ; implicit-def: $vgpr34
	s_delay_alu instid0(VALU_DEP_1) | instskip(NEXT) | instid1(VALU_DEP_1)
	v_add_f32_e32 v0, v175, v176
	v_mul_f32_e32 v0, s21, v0
	s_delay_alu instid0(VALU_DEP_1) | instskip(NEXT) | instid1(VALU_DEP_1)
	v_and_b32_e32 v1, 0x7f800000, v0
	v_cmp_ne_u32_e64 s1, 0x7f800000, v1
	s_delay_alu instid0(VALU_DEP_1) | instskip(NEXT) | instid1(SALU_CYCLE_1)
	s_and_saveexec_b32 s17, s1
	s_xor_b32 s1, exec_lo, s17
; %bb.217:
	v_bfe_u32 v1, v0, 16, 1
	s_delay_alu instid0(VALU_DEP_1)
	v_add3_u32 v34, v0, v1, 0x7fff
                                        ; implicit-def: $vgpr0
; %bb.218:
	s_and_not1_saveexec_b32 s17, s1
; %bb.219:
	v_and_b32_e32 v1, 0xffff, v0
	v_or_b32_e32 v2, 0x10000, v0
	s_delay_alu instid0(VALU_DEP_2) | instskip(NEXT) | instid1(VALU_DEP_1)
	v_cmp_eq_u32_e64 s1, 0, v1
	v_cndmask_b32_e64 v34, v2, v0, s1
; %bb.220:
	s_or_b32 exec_lo, exec_lo, s17
	v_sub_f32_e32 v177, v35, v39
	v_sub_f32_e32 v178, v43, v47
                                        ; implicit-def: $vgpr35
	s_delay_alu instid0(VALU_DEP_1) | instskip(NEXT) | instid1(VALU_DEP_1)
	v_add_f32_e32 v0, v177, v178
	v_mul_f32_e32 v0, s21, v0
	s_delay_alu instid0(VALU_DEP_1) | instskip(NEXT) | instid1(VALU_DEP_1)
	v_and_b32_e32 v1, 0x7f800000, v0
	v_cmp_ne_u32_e64 s1, 0x7f800000, v1
	s_delay_alu instid0(VALU_DEP_1) | instskip(NEXT) | instid1(SALU_CYCLE_1)
	s_and_saveexec_b32 s17, s1
	s_xor_b32 s1, exec_lo, s17
; %bb.221:
	v_bfe_u32 v1, v0, 16, 1
	s_delay_alu instid0(VALU_DEP_1)
	v_add3_u32 v35, v0, v1, 0x7fff
                                        ; implicit-def: $vgpr0
; %bb.222:
	s_and_not1_saveexec_b32 s17, s1
; %bb.223:
	v_and_b32_e32 v1, 0xffff, v0
	v_or_b32_e32 v2, 0x10000, v0
	s_delay_alu instid0(VALU_DEP_2) | instskip(NEXT) | instid1(VALU_DEP_1)
	v_cmp_eq_u32_e64 s1, 0, v1
	v_cndmask_b32_e64 v35, v2, v0, s1
; %bb.224:
	s_or_b32 exec_lo, exec_lo, s17
	v_dual_sub_f32 v179, v48, v49 :: v_dual_sub_f32 v180, v50, v51
                                        ; implicit-def: $vgpr36
	s_delay_alu instid0(VALU_DEP_1) | instskip(NEXT) | instid1(VALU_DEP_1)
	v_add_f32_e32 v0, v179, v180
	v_mul_f32_e32 v0, s21, v0
	s_delay_alu instid0(VALU_DEP_1) | instskip(NEXT) | instid1(VALU_DEP_1)
	v_and_b32_e32 v1, 0x7f800000, v0
	v_cmp_ne_u32_e64 s1, 0x7f800000, v1
	s_delay_alu instid0(VALU_DEP_1) | instskip(NEXT) | instid1(SALU_CYCLE_1)
	s_and_saveexec_b32 s17, s1
	s_xor_b32 s1, exec_lo, s17
; %bb.225:
	v_bfe_u32 v1, v0, 16, 1
	s_delay_alu instid0(VALU_DEP_1)
	v_add3_u32 v36, v0, v1, 0x7fff
                                        ; implicit-def: $vgpr0
; %bb.226:
	s_and_not1_saveexec_b32 s17, s1
; %bb.227:
	v_and_b32_e32 v1, 0xffff, v0
	v_or_b32_e32 v2, 0x10000, v0
	s_delay_alu instid0(VALU_DEP_2) | instskip(NEXT) | instid1(VALU_DEP_1)
	v_cmp_eq_u32_e64 s1, 0, v1
	v_cndmask_b32_e64 v36, v2, v0, s1
; %bb.228:
	s_or_b32 exec_lo, exec_lo, s17
	v_dual_sub_f32 v181, v211, v212 :: v_dual_sub_f32 v182, v213, v214
                                        ; implicit-def: $vgpr37
	s_delay_alu instid0(VALU_DEP_1) | instskip(NEXT) | instid1(VALU_DEP_1)
	v_add_f32_e32 v0, v181, v182
	v_mul_f32_e32 v0, s21, v0
	s_delay_alu instid0(VALU_DEP_1) | instskip(NEXT) | instid1(VALU_DEP_1)
	v_and_b32_e32 v1, 0x7f800000, v0
	v_cmp_ne_u32_e64 s1, 0x7f800000, v1
	s_delay_alu instid0(VALU_DEP_1) | instskip(NEXT) | instid1(SALU_CYCLE_1)
	s_and_saveexec_b32 s17, s1
	s_xor_b32 s1, exec_lo, s17
; %bb.229:
	v_bfe_u32 v1, v0, 16, 1
	s_delay_alu instid0(VALU_DEP_1)
	v_add3_u32 v37, v0, v1, 0x7fff
                                        ; implicit-def: $vgpr0
; %bb.230:
	s_and_not1_saveexec_b32 s17, s1
; %bb.231:
	v_and_b32_e32 v1, 0xffff, v0
	v_or_b32_e32 v2, 0x10000, v0
	s_delay_alu instid0(VALU_DEP_2) | instskip(NEXT) | instid1(VALU_DEP_1)
	v_cmp_eq_u32_e64 s1, 0, v1
	v_cndmask_b32_e64 v37, v2, v0, s1
; %bb.232:
	s_or_b32 exec_lo, exec_lo, s17
	v_dual_sub_f32 v183, v215, v216 :: v_dual_sub_f32 v184, v217, v218
                                        ; implicit-def: $vgpr38
	s_delay_alu instid0(VALU_DEP_1) | instskip(NEXT) | instid1(VALU_DEP_1)
	v_add_f32_e32 v0, v183, v184
	v_mul_f32_e32 v0, s21, v0
	s_delay_alu instid0(VALU_DEP_1) | instskip(NEXT) | instid1(VALU_DEP_1)
	v_and_b32_e32 v1, 0x7f800000, v0
	v_cmp_ne_u32_e64 s1, 0x7f800000, v1
	s_delay_alu instid0(VALU_DEP_1) | instskip(NEXT) | instid1(SALU_CYCLE_1)
	s_and_saveexec_b32 s17, s1
	s_xor_b32 s1, exec_lo, s17
; %bb.233:
	v_bfe_u32 v1, v0, 16, 1
	s_delay_alu instid0(VALU_DEP_1)
	v_add3_u32 v38, v0, v1, 0x7fff
                                        ; implicit-def: $vgpr0
; %bb.234:
	s_and_not1_saveexec_b32 s17, s1
; %bb.235:
	v_and_b32_e32 v1, 0xffff, v0
	v_or_b32_e32 v2, 0x10000, v0
	s_delay_alu instid0(VALU_DEP_2) | instskip(NEXT) | instid1(VALU_DEP_1)
	v_cmp_eq_u32_e64 s1, 0, v1
	v_cndmask_b32_e64 v38, v2, v0, s1
; %bb.236:
	s_or_b32 exec_lo, exec_lo, s17
	v_dual_sub_f32 v185, v219, v220 :: v_dual_sub_f32 v186, v221, v222
                                        ; implicit-def: $vgpr39
	s_delay_alu instid0(VALU_DEP_1) | instskip(NEXT) | instid1(VALU_DEP_1)
	v_add_f32_e32 v0, v185, v186
	v_mul_f32_e32 v0, s21, v0
	s_delay_alu instid0(VALU_DEP_1) | instskip(NEXT) | instid1(VALU_DEP_1)
	v_and_b32_e32 v1, 0x7f800000, v0
	v_cmp_ne_u32_e64 s1, 0x7f800000, v1
	s_delay_alu instid0(VALU_DEP_1) | instskip(NEXT) | instid1(SALU_CYCLE_1)
	s_and_saveexec_b32 s17, s1
	s_xor_b32 s1, exec_lo, s17
; %bb.237:
	v_bfe_u32 v1, v0, 16, 1
	s_delay_alu instid0(VALU_DEP_1)
	v_add3_u32 v39, v0, v1, 0x7fff
                                        ; implicit-def: $vgpr0
; %bb.238:
	s_and_not1_saveexec_b32 s17, s1
; %bb.239:
	v_and_b32_e32 v1, 0xffff, v0
	v_or_b32_e32 v2, 0x10000, v0
	s_delay_alu instid0(VALU_DEP_2) | instskip(NEXT) | instid1(VALU_DEP_1)
	v_cmp_eq_u32_e64 s1, 0, v1
	v_cndmask_b32_e64 v39, v2, v0, s1
; %bb.240:
	s_or_b32 exec_lo, exec_lo, s17
	v_dual_sub_f32 v187, v223, v224 :: v_dual_sub_f32 v188, v225, v226
                                        ; implicit-def: $vgpr40
	s_delay_alu instid0(VALU_DEP_1) | instskip(NEXT) | instid1(VALU_DEP_1)
	v_add_f32_e32 v0, v187, v188
	v_mul_f32_e32 v0, s21, v0
	s_delay_alu instid0(VALU_DEP_1) | instskip(NEXT) | instid1(VALU_DEP_1)
	v_and_b32_e32 v1, 0x7f800000, v0
	v_cmp_ne_u32_e64 s1, 0x7f800000, v1
	s_delay_alu instid0(VALU_DEP_1) | instskip(NEXT) | instid1(SALU_CYCLE_1)
	s_and_saveexec_b32 s17, s1
	s_xor_b32 s1, exec_lo, s17
; %bb.241:
	v_bfe_u32 v1, v0, 16, 1
	s_delay_alu instid0(VALU_DEP_1)
	v_add3_u32 v40, v0, v1, 0x7fff
                                        ; implicit-def: $vgpr0
; %bb.242:
	s_and_not1_saveexec_b32 s17, s1
; %bb.243:
	v_and_b32_e32 v1, 0xffff, v0
	v_or_b32_e32 v2, 0x10000, v0
	s_delay_alu instid0(VALU_DEP_2) | instskip(NEXT) | instid1(VALU_DEP_1)
	v_cmp_eq_u32_e64 s1, 0, v1
	v_cndmask_b32_e64 v40, v2, v0, s1
; %bb.244:
	s_or_b32 exec_lo, exec_lo, s17
	v_dual_sub_f32 v189, v227, v228 :: v_dual_sub_f32 v190, v229, v230
                                        ; implicit-def: $vgpr41
	s_delay_alu instid0(VALU_DEP_1) | instskip(NEXT) | instid1(VALU_DEP_1)
	v_add_f32_e32 v0, v189, v190
	v_mul_f32_e32 v0, s21, v0
	s_delay_alu instid0(VALU_DEP_1) | instskip(NEXT) | instid1(VALU_DEP_1)
	v_and_b32_e32 v1, 0x7f800000, v0
	v_cmp_ne_u32_e64 s1, 0x7f800000, v1
	s_delay_alu instid0(VALU_DEP_1) | instskip(NEXT) | instid1(SALU_CYCLE_1)
	s_and_saveexec_b32 s17, s1
	s_xor_b32 s1, exec_lo, s17
; %bb.245:
	v_bfe_u32 v1, v0, 16, 1
	s_delay_alu instid0(VALU_DEP_1)
	v_add3_u32 v41, v0, v1, 0x7fff
                                        ; implicit-def: $vgpr0
; %bb.246:
	s_and_not1_saveexec_b32 s17, s1
; %bb.247:
	v_and_b32_e32 v1, 0xffff, v0
	v_or_b32_e32 v2, 0x10000, v0
	s_delay_alu instid0(VALU_DEP_2) | instskip(NEXT) | instid1(VALU_DEP_1)
	v_cmp_eq_u32_e64 s1, 0, v1
	v_cndmask_b32_e64 v41, v2, v0, s1
; %bb.248:
	s_or_b32 exec_lo, exec_lo, s17
	v_dual_sub_f32 v191, v231, v232 :: v_dual_sub_f32 v192, v233, v234
                                        ; implicit-def: $vgpr42
	s_delay_alu instid0(VALU_DEP_1) | instskip(NEXT) | instid1(VALU_DEP_1)
	v_add_f32_e32 v0, v191, v192
	v_mul_f32_e32 v0, s21, v0
	s_delay_alu instid0(VALU_DEP_1) | instskip(NEXT) | instid1(VALU_DEP_1)
	v_and_b32_e32 v1, 0x7f800000, v0
	v_cmp_ne_u32_e64 s1, 0x7f800000, v1
	s_delay_alu instid0(VALU_DEP_1) | instskip(NEXT) | instid1(SALU_CYCLE_1)
	s_and_saveexec_b32 s17, s1
	s_xor_b32 s1, exec_lo, s17
; %bb.249:
	v_bfe_u32 v1, v0, 16, 1
	s_delay_alu instid0(VALU_DEP_1)
	v_add3_u32 v42, v0, v1, 0x7fff
                                        ; implicit-def: $vgpr0
; %bb.250:
	s_and_not1_saveexec_b32 s17, s1
; %bb.251:
	v_and_b32_e32 v1, 0xffff, v0
	v_or_b32_e32 v2, 0x10000, v0
	s_delay_alu instid0(VALU_DEP_2) | instskip(NEXT) | instid1(VALU_DEP_1)
	v_cmp_eq_u32_e64 s1, 0, v1
	v_cndmask_b32_e64 v42, v2, v0, s1
; %bb.252:
	s_or_b32 exec_lo, exec_lo, s17
	v_dual_sub_f32 v193, v235, v236 :: v_dual_sub_f32 v194, v237, v238
                                        ; implicit-def: $vgpr43
	s_delay_alu instid0(VALU_DEP_1) | instskip(NEXT) | instid1(VALU_DEP_1)
	v_add_f32_e32 v0, v193, v194
	v_mul_f32_e32 v0, s21, v0
	s_delay_alu instid0(VALU_DEP_1) | instskip(NEXT) | instid1(VALU_DEP_1)
	v_and_b32_e32 v1, 0x7f800000, v0
	v_cmp_ne_u32_e64 s1, 0x7f800000, v1
	s_delay_alu instid0(VALU_DEP_1) | instskip(NEXT) | instid1(SALU_CYCLE_1)
	s_and_saveexec_b32 s17, s1
	s_xor_b32 s1, exec_lo, s17
; %bb.253:
	v_bfe_u32 v1, v0, 16, 1
	s_delay_alu instid0(VALU_DEP_1)
	v_add3_u32 v43, v0, v1, 0x7fff
                                        ; implicit-def: $vgpr0
; %bb.254:
	s_and_not1_saveexec_b32 s17, s1
; %bb.255:
	v_and_b32_e32 v1, 0xffff, v0
	v_or_b32_e32 v2, 0x10000, v0
	s_delay_alu instid0(VALU_DEP_2) | instskip(NEXT) | instid1(VALU_DEP_1)
	v_cmp_eq_u32_e64 s1, 0, v1
	v_cndmask_b32_e64 v43, v2, v0, s1
; %bb.256:
	s_or_b32 exec_lo, exec_lo, s17
	v_dual_sub_f32 v195, v239, v240 :: v_dual_sub_f32 v196, v241, v242
                                        ; implicit-def: $vgpr44
	s_delay_alu instid0(VALU_DEP_1) | instskip(NEXT) | instid1(VALU_DEP_1)
	v_add_f32_e32 v0, v195, v196
	v_mul_f32_e32 v0, s21, v0
	s_delay_alu instid0(VALU_DEP_1) | instskip(NEXT) | instid1(VALU_DEP_1)
	v_and_b32_e32 v1, 0x7f800000, v0
	v_cmp_ne_u32_e64 s1, 0x7f800000, v1
	s_delay_alu instid0(VALU_DEP_1) | instskip(NEXT) | instid1(SALU_CYCLE_1)
	s_and_saveexec_b32 s17, s1
	s_xor_b32 s1, exec_lo, s17
; %bb.257:
	v_bfe_u32 v1, v0, 16, 1
	s_delay_alu instid0(VALU_DEP_1)
	v_add3_u32 v44, v0, v1, 0x7fff
                                        ; implicit-def: $vgpr0
; %bb.258:
	s_and_not1_saveexec_b32 s17, s1
; %bb.259:
	v_and_b32_e32 v1, 0xffff, v0
	v_or_b32_e32 v2, 0x10000, v0
	s_delay_alu instid0(VALU_DEP_2) | instskip(NEXT) | instid1(VALU_DEP_1)
	v_cmp_eq_u32_e64 s1, 0, v1
	v_cndmask_b32_e64 v44, v2, v0, s1
; %bb.260:
	s_or_b32 exec_lo, exec_lo, s17
	v_dual_sub_f32 v197, v243, v244 :: v_dual_sub_f32 v198, v245, v246
                                        ; implicit-def: $vgpr45
	s_delay_alu instid0(VALU_DEP_1) | instskip(NEXT) | instid1(VALU_DEP_1)
	v_add_f32_e32 v0, v197, v198
	v_mul_f32_e32 v0, s21, v0
	s_delay_alu instid0(VALU_DEP_1) | instskip(NEXT) | instid1(VALU_DEP_1)
	v_and_b32_e32 v1, 0x7f800000, v0
	v_cmp_ne_u32_e64 s1, 0x7f800000, v1
	s_delay_alu instid0(VALU_DEP_1) | instskip(NEXT) | instid1(SALU_CYCLE_1)
	s_and_saveexec_b32 s17, s1
	s_xor_b32 s1, exec_lo, s17
; %bb.261:
	v_bfe_u32 v1, v0, 16, 1
	s_delay_alu instid0(VALU_DEP_1)
	v_add3_u32 v45, v0, v1, 0x7fff
                                        ; implicit-def: $vgpr0
; %bb.262:
	s_and_not1_saveexec_b32 s17, s1
; %bb.263:
	v_and_b32_e32 v1, 0xffff, v0
	v_or_b32_e32 v2, 0x10000, v0
	s_delay_alu instid0(VALU_DEP_2) | instskip(NEXT) | instid1(VALU_DEP_1)
	v_cmp_eq_u32_e64 s1, 0, v1
	v_cndmask_b32_e64 v45, v2, v0, s1
; %bb.264:
	s_or_b32 exec_lo, exec_lo, s17
	v_dual_sub_f32 v199, v247, v248 :: v_dual_sub_f32 v200, v249, v250
                                        ; implicit-def: $vgpr46
	s_delay_alu instid0(VALU_DEP_1) | instskip(NEXT) | instid1(VALU_DEP_1)
	v_add_f32_e32 v0, v199, v200
	v_mul_f32_e32 v0, s21, v0
	s_delay_alu instid0(VALU_DEP_1) | instskip(NEXT) | instid1(VALU_DEP_1)
	v_and_b32_e32 v1, 0x7f800000, v0
	v_cmp_ne_u32_e64 s1, 0x7f800000, v1
	s_delay_alu instid0(VALU_DEP_1) | instskip(NEXT) | instid1(SALU_CYCLE_1)
	s_and_saveexec_b32 s17, s1
	s_xor_b32 s1, exec_lo, s17
; %bb.265:
	v_bfe_u32 v1, v0, 16, 1
	s_delay_alu instid0(VALU_DEP_1)
	v_add3_u32 v46, v0, v1, 0x7fff
                                        ; implicit-def: $vgpr0
; %bb.266:
	s_and_not1_saveexec_b32 s17, s1
; %bb.267:
	v_and_b32_e32 v1, 0xffff, v0
	v_or_b32_e32 v2, 0x10000, v0
	s_delay_alu instid0(VALU_DEP_2) | instskip(NEXT) | instid1(VALU_DEP_1)
	v_cmp_eq_u32_e64 s1, 0, v1
	v_cndmask_b32_e64 v46, v2, v0, s1
; %bb.268:
	s_or_b32 exec_lo, exec_lo, s17
	v_dual_sub_f32 v201, v251, v252 :: v_dual_sub_f32 v202, v253, v254
                                        ; implicit-def: $vgpr47
	s_delay_alu instid0(VALU_DEP_1) | instskip(NEXT) | instid1(VALU_DEP_1)
	v_add_f32_e32 v0, v201, v202
	v_mul_f32_e32 v0, s21, v0
	s_delay_alu instid0(VALU_DEP_1) | instskip(NEXT) | instid1(VALU_DEP_1)
	v_and_b32_e32 v1, 0x7f800000, v0
	v_cmp_ne_u32_e64 s1, 0x7f800000, v1
	s_delay_alu instid0(VALU_DEP_1) | instskip(NEXT) | instid1(SALU_CYCLE_1)
	s_and_saveexec_b32 s17, s1
	s_xor_b32 s1, exec_lo, s17
; %bb.269:
	v_bfe_u32 v1, v0, 16, 1
	s_delay_alu instid0(VALU_DEP_1)
	v_add3_u32 v47, v0, v1, 0x7fff
                                        ; implicit-def: $vgpr0
; %bb.270:
	s_and_not1_saveexec_b32 s17, s1
; %bb.271:
	v_and_b32_e32 v1, 0xffff, v0
	v_or_b32_e32 v2, 0x10000, v0
	s_delay_alu instid0(VALU_DEP_2) | instskip(NEXT) | instid1(VALU_DEP_1)
	v_cmp_eq_u32_e64 s1, 0, v1
	v_cndmask_b32_e64 v47, v2, v0, s1
; %bb.272:
	s_or_b32 exec_lo, exec_lo, s17
	v_sub_f32_e32 v203, v255, v134
	v_sub_f32_e32 v204, v135, v136
                                        ; implicit-def: $vgpr48
	s_delay_alu instid0(VALU_DEP_1) | instskip(NEXT) | instid1(VALU_DEP_1)
	v_add_f32_e32 v0, v203, v204
	v_mul_f32_e32 v0, s21, v0
	s_delay_alu instid0(VALU_DEP_1) | instskip(NEXT) | instid1(VALU_DEP_1)
	v_and_b32_e32 v1, 0x7f800000, v0
	v_cmp_ne_u32_e64 s1, 0x7f800000, v1
	s_delay_alu instid0(VALU_DEP_1) | instskip(NEXT) | instid1(SALU_CYCLE_1)
	s_and_saveexec_b32 s17, s1
	s_xor_b32 s1, exec_lo, s17
; %bb.273:
	v_bfe_u32 v1, v0, 16, 1
	s_delay_alu instid0(VALU_DEP_1)
	v_add3_u32 v48, v0, v1, 0x7fff
                                        ; implicit-def: $vgpr0
; %bb.274:
	s_and_not1_saveexec_b32 s17, s1
; %bb.275:
	v_and_b32_e32 v1, 0xffff, v0
	v_or_b32_e32 v2, 0x10000, v0
	s_delay_alu instid0(VALU_DEP_2) | instskip(NEXT) | instid1(VALU_DEP_1)
	v_cmp_eq_u32_e64 s1, 0, v1
	v_cndmask_b32_e64 v48, v2, v0, s1
; %bb.276:
	s_or_b32 exec_lo, exec_lo, s17
	v_dual_sub_f32 v205, v137, v138 :: v_dual_sub_f32 v206, v139, v140
                                        ; implicit-def: $vgpr49
	s_delay_alu instid0(VALU_DEP_1) | instskip(NEXT) | instid1(VALU_DEP_1)
	v_add_f32_e32 v0, v205, v206
	v_mul_f32_e32 v0, s21, v0
	s_delay_alu instid0(VALU_DEP_1) | instskip(NEXT) | instid1(VALU_DEP_1)
	v_and_b32_e32 v1, 0x7f800000, v0
	v_cmp_ne_u32_e64 s1, 0x7f800000, v1
	s_delay_alu instid0(VALU_DEP_1) | instskip(NEXT) | instid1(SALU_CYCLE_1)
	s_and_saveexec_b32 s17, s1
	s_xor_b32 s1, exec_lo, s17
; %bb.277:
	v_bfe_u32 v1, v0, 16, 1
	s_delay_alu instid0(VALU_DEP_1)
	v_add3_u32 v49, v0, v1, 0x7fff
                                        ; implicit-def: $vgpr0
; %bb.278:
	s_and_not1_saveexec_b32 s17, s1
; %bb.279:
	v_and_b32_e32 v1, 0xffff, v0
	v_or_b32_e32 v2, 0x10000, v0
	s_delay_alu instid0(VALU_DEP_2) | instskip(NEXT) | instid1(VALU_DEP_1)
	v_cmp_eq_u32_e64 s1, 0, v1
	v_cndmask_b32_e64 v49, v2, v0, s1
; %bb.280:
	s_or_b32 exec_lo, exec_lo, s17
	v_dual_sub_f32 v207, v141, v142 :: v_dual_sub_f32 v208, v143, v144
                                        ; implicit-def: $vgpr50
	s_delay_alu instid0(VALU_DEP_1) | instskip(NEXT) | instid1(VALU_DEP_1)
	v_add_f32_e32 v0, v207, v208
	v_mul_f32_e32 v0, s21, v0
	s_delay_alu instid0(VALU_DEP_1) | instskip(NEXT) | instid1(VALU_DEP_1)
	v_and_b32_e32 v1, 0x7f800000, v0
	v_cmp_ne_u32_e64 s1, 0x7f800000, v1
	s_delay_alu instid0(VALU_DEP_1) | instskip(NEXT) | instid1(SALU_CYCLE_1)
	s_and_saveexec_b32 s17, s1
	s_xor_b32 s1, exec_lo, s17
; %bb.281:
	v_bfe_u32 v1, v0, 16, 1
	s_delay_alu instid0(VALU_DEP_1)
	v_add3_u32 v50, v0, v1, 0x7fff
                                        ; implicit-def: $vgpr0
; %bb.282:
	s_and_not1_saveexec_b32 s17, s1
; %bb.283:
	v_and_b32_e32 v1, 0xffff, v0
	v_or_b32_e32 v2, 0x10000, v0
	s_delay_alu instid0(VALU_DEP_2) | instskip(NEXT) | instid1(VALU_DEP_1)
	v_cmp_eq_u32_e64 s1, 0, v1
	v_cndmask_b32_e64 v50, v2, v0, s1
; %bb.284:
	s_or_b32 exec_lo, exec_lo, s17
	v_sub_f32_e32 v209, v145, v146
	v_sub_f32_e32 v210, v129, v131
                                        ; implicit-def: $vgpr51
	s_delay_alu instid0(VALU_DEP_1) | instskip(NEXT) | instid1(VALU_DEP_1)
	v_add_f32_e32 v0, v209, v210
	v_mul_f32_e32 v0, s21, v0
	s_delay_alu instid0(VALU_DEP_1) | instskip(NEXT) | instid1(VALU_DEP_1)
	v_and_b32_e32 v1, 0x7f800000, v0
	v_cmp_ne_u32_e64 s1, 0x7f800000, v1
	s_delay_alu instid0(VALU_DEP_1) | instskip(NEXT) | instid1(SALU_CYCLE_1)
	s_and_saveexec_b32 s17, s1
	s_xor_b32 s1, exec_lo, s17
; %bb.285:
	v_bfe_u32 v1, v0, 16, 1
	s_delay_alu instid0(VALU_DEP_1)
	v_add3_u32 v51, v0, v1, 0x7fff
                                        ; implicit-def: $vgpr0
; %bb.286:
	s_and_not1_saveexec_b32 s17, s1
; %bb.287:
	v_and_b32_e32 v1, 0xffff, v0
	v_or_b32_e32 v2, 0x10000, v0
	s_delay_alu instid0(VALU_DEP_2) | instskip(NEXT) | instid1(VALU_DEP_1)
	v_cmp_eq_u32_e64 s1, 0, v1
	v_cndmask_b32_e64 v51, v2, v0, s1
; %bb.288:
	s_or_b32 exec_lo, exec_lo, s17
	v_sub_f32_e32 v0, v152, v153
                                        ; implicit-def: $vgpr76
	s_delay_alu instid0(VALU_DEP_1) | instskip(NEXT) | instid1(VALU_DEP_1)
	v_mul_f32_e32 v0, s21, v0
	v_and_b32_e32 v1, 0x7f800000, v0
	s_delay_alu instid0(VALU_DEP_1) | instskip(NEXT) | instid1(VALU_DEP_1)
	v_cmp_ne_u32_e64 s1, 0x7f800000, v1
	s_and_saveexec_b32 s17, s1
	s_delay_alu instid0(SALU_CYCLE_1)
	s_xor_b32 s1, exec_lo, s17
; %bb.289:
	v_bfe_u32 v1, v0, 16, 1
	s_delay_alu instid0(VALU_DEP_1)
	v_add3_u32 v76, v0, v1, 0x7fff
                                        ; implicit-def: $vgpr0
; %bb.290:
	s_and_not1_saveexec_b32 s17, s1
; %bb.291:
	v_and_b32_e32 v1, 0xffff, v0
	v_or_b32_e32 v2, 0x10000, v0
	s_delay_alu instid0(VALU_DEP_2) | instskip(NEXT) | instid1(VALU_DEP_1)
	v_cmp_eq_u32_e64 s1, 0, v1
	v_cndmask_b32_e64 v76, v2, v0, s1
; %bb.292:
	s_or_b32 exec_lo, exec_lo, s17
	v_sub_f32_e32 v0, v154, v155
                                        ; implicit-def: $vgpr89
	s_delay_alu instid0(VALU_DEP_1) | instskip(NEXT) | instid1(VALU_DEP_1)
	v_mul_f32_e32 v0, s21, v0
	v_and_b32_e32 v1, 0x7f800000, v0
	s_delay_alu instid0(VALU_DEP_1) | instskip(NEXT) | instid1(VALU_DEP_1)
	v_cmp_ne_u32_e64 s1, 0x7f800000, v1
	s_and_saveexec_b32 s17, s1
	s_delay_alu instid0(SALU_CYCLE_1)
	s_xor_b32 s1, exec_lo, s17
; %bb.293:
	v_bfe_u32 v1, v0, 16, 1
	s_delay_alu instid0(VALU_DEP_1)
	v_add3_u32 v89, v0, v1, 0x7fff
                                        ; implicit-def: $vgpr0
; %bb.294:
	s_and_not1_saveexec_b32 s17, s1
; %bb.295:
	v_and_b32_e32 v1, 0xffff, v0
	v_or_b32_e32 v2, 0x10000, v0
	s_delay_alu instid0(VALU_DEP_2) | instskip(NEXT) | instid1(VALU_DEP_1)
	v_cmp_eq_u32_e64 s1, 0, v1
	v_cndmask_b32_e64 v89, v2, v0, s1
; %bb.296:
	s_or_b32 exec_lo, exec_lo, s17
	v_sub_f32_e32 v0, v156, v157
                                        ; implicit-def: $vgpr102
	s_delay_alu instid0(VALU_DEP_1) | instskip(NEXT) | instid1(VALU_DEP_1)
	v_mul_f32_e32 v0, s21, v0
	v_and_b32_e32 v1, 0x7f800000, v0
	s_delay_alu instid0(VALU_DEP_1) | instskip(NEXT) | instid1(VALU_DEP_1)
	v_cmp_ne_u32_e64 s1, 0x7f800000, v1
	s_and_saveexec_b32 s17, s1
	s_delay_alu instid0(SALU_CYCLE_1)
	s_xor_b32 s1, exec_lo, s17
; %bb.297:
	v_bfe_u32 v1, v0, 16, 1
	s_delay_alu instid0(VALU_DEP_1)
	v_add3_u32 v102, v0, v1, 0x7fff
                                        ; implicit-def: $vgpr0
; %bb.298:
	s_and_not1_saveexec_b32 s17, s1
; %bb.299:
	v_and_b32_e32 v1, 0xffff, v0
	v_or_b32_e32 v2, 0x10000, v0
	s_delay_alu instid0(VALU_DEP_2) | instskip(NEXT) | instid1(VALU_DEP_1)
	v_cmp_eq_u32_e64 s1, 0, v1
	v_cndmask_b32_e64 v102, v2, v0, s1
; %bb.300:
	s_or_b32 exec_lo, exec_lo, s17
	v_sub_f32_e32 v0, v158, v159
                                        ; implicit-def: $vgpr152
	s_delay_alu instid0(VALU_DEP_1) | instskip(NEXT) | instid1(VALU_DEP_1)
	v_mul_f32_e32 v0, s21, v0
	v_and_b32_e32 v1, 0x7f800000, v0
	s_delay_alu instid0(VALU_DEP_1) | instskip(NEXT) | instid1(VALU_DEP_1)
	v_cmp_ne_u32_e64 s1, 0x7f800000, v1
	s_and_saveexec_b32 s17, s1
	s_delay_alu instid0(SALU_CYCLE_1)
	s_xor_b32 s1, exec_lo, s17
; %bb.301:
	v_bfe_u32 v1, v0, 16, 1
	s_delay_alu instid0(VALU_DEP_1)
	v_add3_u32 v152, v0, v1, 0x7fff
                                        ; implicit-def: $vgpr0
; %bb.302:
	s_and_not1_saveexec_b32 s17, s1
; %bb.303:
	v_and_b32_e32 v1, 0xffff, v0
	v_or_b32_e32 v2, 0x10000, v0
	s_delay_alu instid0(VALU_DEP_2) | instskip(NEXT) | instid1(VALU_DEP_1)
	v_cmp_eq_u32_e64 s1, 0, v1
	v_cndmask_b32_e64 v152, v2, v0, s1
; %bb.304:
	s_or_b32 exec_lo, exec_lo, s17
	v_sub_f32_e32 v0, v160, v161
                                        ; implicit-def: $vgpr153
	s_delay_alu instid0(VALU_DEP_1) | instskip(NEXT) | instid1(VALU_DEP_1)
	v_mul_f32_e32 v0, s21, v0
	v_and_b32_e32 v1, 0x7f800000, v0
	s_delay_alu instid0(VALU_DEP_1) | instskip(NEXT) | instid1(VALU_DEP_1)
	v_cmp_ne_u32_e64 s1, 0x7f800000, v1
	s_and_saveexec_b32 s17, s1
	s_delay_alu instid0(SALU_CYCLE_1)
	s_xor_b32 s1, exec_lo, s17
; %bb.305:
	v_bfe_u32 v1, v0, 16, 1
	s_delay_alu instid0(VALU_DEP_1)
	v_add3_u32 v153, v0, v1, 0x7fff
                                        ; implicit-def: $vgpr0
; %bb.306:
	s_and_not1_saveexec_b32 s17, s1
; %bb.307:
	v_and_b32_e32 v1, 0xffff, v0
	v_or_b32_e32 v2, 0x10000, v0
	s_delay_alu instid0(VALU_DEP_2) | instskip(NEXT) | instid1(VALU_DEP_1)
	v_cmp_eq_u32_e64 s1, 0, v1
	v_cndmask_b32_e64 v153, v2, v0, s1
; %bb.308:
	s_or_b32 exec_lo, exec_lo, s17
	v_sub_f32_e32 v0, v162, v163
                                        ; implicit-def: $vgpr154
	s_delay_alu instid0(VALU_DEP_1) | instskip(NEXT) | instid1(VALU_DEP_1)
	v_mul_f32_e32 v0, s21, v0
	v_and_b32_e32 v1, 0x7f800000, v0
	s_delay_alu instid0(VALU_DEP_1) | instskip(NEXT) | instid1(VALU_DEP_1)
	v_cmp_ne_u32_e64 s1, 0x7f800000, v1
	s_and_saveexec_b32 s17, s1
	s_delay_alu instid0(SALU_CYCLE_1)
	s_xor_b32 s1, exec_lo, s17
; %bb.309:
	v_bfe_u32 v1, v0, 16, 1
	s_delay_alu instid0(VALU_DEP_1)
	v_add3_u32 v154, v0, v1, 0x7fff
                                        ; implicit-def: $vgpr0
; %bb.310:
	s_and_not1_saveexec_b32 s17, s1
; %bb.311:
	v_and_b32_e32 v1, 0xffff, v0
	v_or_b32_e32 v2, 0x10000, v0
	s_delay_alu instid0(VALU_DEP_2) | instskip(NEXT) | instid1(VALU_DEP_1)
	v_cmp_eq_u32_e64 s1, 0, v1
	v_cndmask_b32_e64 v154, v2, v0, s1
; %bb.312:
	s_or_b32 exec_lo, exec_lo, s17
	v_sub_f32_e32 v0, v164, v165
                                        ; implicit-def: $vgpr155
	s_delay_alu instid0(VALU_DEP_1) | instskip(NEXT) | instid1(VALU_DEP_1)
	v_mul_f32_e32 v0, s21, v0
	v_and_b32_e32 v1, 0x7f800000, v0
	s_delay_alu instid0(VALU_DEP_1) | instskip(NEXT) | instid1(VALU_DEP_1)
	v_cmp_ne_u32_e64 s1, 0x7f800000, v1
	s_and_saveexec_b32 s17, s1
	s_delay_alu instid0(SALU_CYCLE_1)
	s_xor_b32 s1, exec_lo, s17
; %bb.313:
	v_bfe_u32 v1, v0, 16, 1
	s_delay_alu instid0(VALU_DEP_1)
	v_add3_u32 v155, v0, v1, 0x7fff
                                        ; implicit-def: $vgpr0
; %bb.314:
	s_and_not1_saveexec_b32 s17, s1
; %bb.315:
	v_and_b32_e32 v1, 0xffff, v0
	v_or_b32_e32 v2, 0x10000, v0
	s_delay_alu instid0(VALU_DEP_2) | instskip(NEXT) | instid1(VALU_DEP_1)
	v_cmp_eq_u32_e64 s1, 0, v1
	v_cndmask_b32_e64 v155, v2, v0, s1
; %bb.316:
	s_or_b32 exec_lo, exec_lo, s17
	v_sub_f32_e32 v0, v166, v167
                                        ; implicit-def: $vgpr156
	s_delay_alu instid0(VALU_DEP_1) | instskip(NEXT) | instid1(VALU_DEP_1)
	v_mul_f32_e32 v0, s21, v0
	v_and_b32_e32 v1, 0x7f800000, v0
	s_delay_alu instid0(VALU_DEP_1) | instskip(NEXT) | instid1(VALU_DEP_1)
	v_cmp_ne_u32_e64 s1, 0x7f800000, v1
	s_and_saveexec_b32 s17, s1
	s_delay_alu instid0(SALU_CYCLE_1)
	s_xor_b32 s1, exec_lo, s17
; %bb.317:
	v_bfe_u32 v1, v0, 16, 1
	s_delay_alu instid0(VALU_DEP_1)
	v_add3_u32 v156, v0, v1, 0x7fff
                                        ; implicit-def: $vgpr0
; %bb.318:
	s_and_not1_saveexec_b32 s17, s1
; %bb.319:
	v_and_b32_e32 v1, 0xffff, v0
	v_or_b32_e32 v2, 0x10000, v0
	s_delay_alu instid0(VALU_DEP_2) | instskip(NEXT) | instid1(VALU_DEP_1)
	v_cmp_eq_u32_e64 s1, 0, v1
	v_cndmask_b32_e64 v156, v2, v0, s1
; %bb.320:
	s_or_b32 exec_lo, exec_lo, s17
	v_sub_f32_e32 v0, v68, v72
                                        ; implicit-def: $vgpr68
	s_delay_alu instid0(VALU_DEP_1) | instskip(NEXT) | instid1(VALU_DEP_1)
	v_mul_f32_e32 v0, s21, v0
	v_and_b32_e32 v1, 0x7f800000, v0
	s_delay_alu instid0(VALU_DEP_1) | instskip(NEXT) | instid1(VALU_DEP_1)
	v_cmp_ne_u32_e64 s1, 0x7f800000, v1
	s_and_saveexec_b32 s17, s1
	s_delay_alu instid0(SALU_CYCLE_1)
	s_xor_b32 s1, exec_lo, s17
; %bb.321:
	v_bfe_u32 v1, v0, 16, 1
	s_delay_alu instid0(VALU_DEP_1)
	v_add3_u32 v68, v0, v1, 0x7fff
                                        ; implicit-def: $vgpr0
; %bb.322:
	s_and_not1_saveexec_b32 s17, s1
; %bb.323:
	v_and_b32_e32 v1, 0xffff, v0
	v_or_b32_e32 v2, 0x10000, v0
	s_delay_alu instid0(VALU_DEP_2) | instskip(NEXT) | instid1(VALU_DEP_1)
	v_cmp_eq_u32_e64 s1, 0, v1
	v_cndmask_b32_e64 v68, v2, v0, s1
; %bb.324:
	s_or_b32 exec_lo, exec_lo, s17
	v_sub_f32_e32 v0, v69, v73
                                        ; implicit-def: $vgpr69
	s_delay_alu instid0(VALU_DEP_1) | instskip(NEXT) | instid1(VALU_DEP_1)
	v_mul_f32_e32 v0, s21, v0
	v_and_b32_e32 v1, 0x7f800000, v0
	s_delay_alu instid0(VALU_DEP_1) | instskip(NEXT) | instid1(VALU_DEP_1)
	v_cmp_ne_u32_e64 s1, 0x7f800000, v1
	s_and_saveexec_b32 s17, s1
	s_delay_alu instid0(SALU_CYCLE_1)
	s_xor_b32 s1, exec_lo, s17
; %bb.325:
	v_bfe_u32 v1, v0, 16, 1
	s_delay_alu instid0(VALU_DEP_1)
	v_add3_u32 v69, v0, v1, 0x7fff
                                        ; implicit-def: $vgpr0
; %bb.326:
	s_and_not1_saveexec_b32 s17, s1
; %bb.327:
	v_and_b32_e32 v1, 0xffff, v0
	v_or_b32_e32 v2, 0x10000, v0
	s_delay_alu instid0(VALU_DEP_2) | instskip(NEXT) | instid1(VALU_DEP_1)
	v_cmp_eq_u32_e64 s1, 0, v1
	v_cndmask_b32_e64 v69, v2, v0, s1
; %bb.328:
	s_or_b32 exec_lo, exec_lo, s17
	v_sub_f32_e32 v0, v70, v74
                                        ; implicit-def: $vgpr70
	s_delay_alu instid0(VALU_DEP_1) | instskip(NEXT) | instid1(VALU_DEP_1)
	v_mul_f32_e32 v0, s21, v0
	v_and_b32_e32 v1, 0x7f800000, v0
	s_delay_alu instid0(VALU_DEP_1) | instskip(NEXT) | instid1(VALU_DEP_1)
	v_cmp_ne_u32_e64 s1, 0x7f800000, v1
	s_and_saveexec_b32 s17, s1
	s_delay_alu instid0(SALU_CYCLE_1)
	s_xor_b32 s1, exec_lo, s17
; %bb.329:
	v_bfe_u32 v1, v0, 16, 1
	s_delay_alu instid0(VALU_DEP_1)
	v_add3_u32 v70, v0, v1, 0x7fff
                                        ; implicit-def: $vgpr0
; %bb.330:
	s_and_not1_saveexec_b32 s17, s1
; %bb.331:
	v_and_b32_e32 v1, 0xffff, v0
	v_or_b32_e32 v2, 0x10000, v0
	s_delay_alu instid0(VALU_DEP_2) | instskip(NEXT) | instid1(VALU_DEP_1)
	v_cmp_eq_u32_e64 s1, 0, v1
	v_cndmask_b32_e64 v70, v2, v0, s1
; %bb.332:
	s_or_b32 exec_lo, exec_lo, s17
	v_sub_f32_e32 v0, v71, v75
                                        ; implicit-def: $vgpr71
	s_delay_alu instid0(VALU_DEP_1) | instskip(NEXT) | instid1(VALU_DEP_1)
	v_mul_f32_e32 v0, s21, v0
	v_and_b32_e32 v1, 0x7f800000, v0
	s_delay_alu instid0(VALU_DEP_1) | instskip(NEXT) | instid1(VALU_DEP_1)
	v_cmp_ne_u32_e64 s1, 0x7f800000, v1
	s_and_saveexec_b32 s17, s1
	s_delay_alu instid0(SALU_CYCLE_1)
	s_xor_b32 s1, exec_lo, s17
; %bb.333:
	v_bfe_u32 v1, v0, 16, 1
	s_delay_alu instid0(VALU_DEP_1)
	v_add3_u32 v71, v0, v1, 0x7fff
                                        ; implicit-def: $vgpr0
; %bb.334:
	s_and_not1_saveexec_b32 s17, s1
; %bb.335:
	v_and_b32_e32 v1, 0xffff, v0
	v_or_b32_e32 v2, 0x10000, v0
	s_delay_alu instid0(VALU_DEP_2) | instskip(NEXT) | instid1(VALU_DEP_1)
	v_cmp_eq_u32_e64 s1, 0, v1
	v_cndmask_b32_e64 v71, v2, v0, s1
; %bb.336:
	s_or_b32 exec_lo, exec_lo, s17
	v_sub_f32_e32 v0, v52, v56
                                        ; implicit-def: $vgpr52
	s_delay_alu instid0(VALU_DEP_1) | instskip(NEXT) | instid1(VALU_DEP_1)
	v_mul_f32_e32 v0, s21, v0
	v_and_b32_e32 v1, 0x7f800000, v0
	s_delay_alu instid0(VALU_DEP_1) | instskip(NEXT) | instid1(VALU_DEP_1)
	v_cmp_ne_u32_e64 s1, 0x7f800000, v1
	s_and_saveexec_b32 s17, s1
	s_delay_alu instid0(SALU_CYCLE_1)
	s_xor_b32 s1, exec_lo, s17
; %bb.337:
	v_bfe_u32 v1, v0, 16, 1
	s_delay_alu instid0(VALU_DEP_1)
	v_add3_u32 v52, v0, v1, 0x7fff
                                        ; implicit-def: $vgpr0
; %bb.338:
	s_and_not1_saveexec_b32 s17, s1
; %bb.339:
	v_and_b32_e32 v1, 0xffff, v0
	v_or_b32_e32 v2, 0x10000, v0
	s_delay_alu instid0(VALU_DEP_2) | instskip(NEXT) | instid1(VALU_DEP_1)
	v_cmp_eq_u32_e64 s1, 0, v1
	v_cndmask_b32_e64 v52, v2, v0, s1
; %bb.340:
	s_or_b32 exec_lo, exec_lo, s17
	v_sub_f32_e32 v0, v53, v57
                                        ; implicit-def: $vgpr53
	s_delay_alu instid0(VALU_DEP_1) | instskip(NEXT) | instid1(VALU_DEP_1)
	v_mul_f32_e32 v0, s21, v0
	v_and_b32_e32 v1, 0x7f800000, v0
	s_delay_alu instid0(VALU_DEP_1) | instskip(NEXT) | instid1(VALU_DEP_1)
	v_cmp_ne_u32_e64 s1, 0x7f800000, v1
	s_and_saveexec_b32 s17, s1
	s_delay_alu instid0(SALU_CYCLE_1)
	s_xor_b32 s1, exec_lo, s17
; %bb.341:
	v_bfe_u32 v1, v0, 16, 1
	s_delay_alu instid0(VALU_DEP_1)
	v_add3_u32 v53, v0, v1, 0x7fff
                                        ; implicit-def: $vgpr0
; %bb.342:
	s_and_not1_saveexec_b32 s17, s1
; %bb.343:
	v_and_b32_e32 v1, 0xffff, v0
	v_or_b32_e32 v2, 0x10000, v0
	s_delay_alu instid0(VALU_DEP_2) | instskip(NEXT) | instid1(VALU_DEP_1)
	v_cmp_eq_u32_e64 s1, 0, v1
	v_cndmask_b32_e64 v53, v2, v0, s1
; %bb.344:
	s_or_b32 exec_lo, exec_lo, s17
	v_sub_f32_e32 v0, v54, v58
                                        ; implicit-def: $vgpr54
	s_delay_alu instid0(VALU_DEP_1) | instskip(NEXT) | instid1(VALU_DEP_1)
	v_mul_f32_e32 v0, s21, v0
	v_and_b32_e32 v1, 0x7f800000, v0
	s_delay_alu instid0(VALU_DEP_1) | instskip(NEXT) | instid1(VALU_DEP_1)
	v_cmp_ne_u32_e64 s1, 0x7f800000, v1
	s_and_saveexec_b32 s17, s1
	s_delay_alu instid0(SALU_CYCLE_1)
	s_xor_b32 s1, exec_lo, s17
; %bb.345:
	v_bfe_u32 v1, v0, 16, 1
	s_delay_alu instid0(VALU_DEP_1)
	v_add3_u32 v54, v0, v1, 0x7fff
                                        ; implicit-def: $vgpr0
; %bb.346:
	s_and_not1_saveexec_b32 s17, s1
; %bb.347:
	v_and_b32_e32 v1, 0xffff, v0
	v_or_b32_e32 v2, 0x10000, v0
	s_delay_alu instid0(VALU_DEP_2) | instskip(NEXT) | instid1(VALU_DEP_1)
	v_cmp_eq_u32_e64 s1, 0, v1
	v_cndmask_b32_e64 v54, v2, v0, s1
; %bb.348:
	s_or_b32 exec_lo, exec_lo, s17
	v_sub_f32_e32 v0, v55, v59
                                        ; implicit-def: $vgpr55
	s_delay_alu instid0(VALU_DEP_1) | instskip(NEXT) | instid1(VALU_DEP_1)
	v_mul_f32_e32 v0, s21, v0
	v_and_b32_e32 v1, 0x7f800000, v0
	s_delay_alu instid0(VALU_DEP_1) | instskip(NEXT) | instid1(VALU_DEP_1)
	v_cmp_ne_u32_e64 s1, 0x7f800000, v1
	s_and_saveexec_b32 s17, s1
	s_delay_alu instid0(SALU_CYCLE_1)
	s_xor_b32 s1, exec_lo, s17
; %bb.349:
	v_bfe_u32 v1, v0, 16, 1
	s_delay_alu instid0(VALU_DEP_1)
	v_add3_u32 v55, v0, v1, 0x7fff
                                        ; implicit-def: $vgpr0
; %bb.350:
	s_and_not1_saveexec_b32 s17, s1
; %bb.351:
	v_and_b32_e32 v1, 0xffff, v0
	v_or_b32_e32 v2, 0x10000, v0
	s_delay_alu instid0(VALU_DEP_2) | instskip(NEXT) | instid1(VALU_DEP_1)
	v_cmp_eq_u32_e64 s1, 0, v1
	v_cndmask_b32_e64 v55, v2, v0, s1
; %bb.352:
	s_or_b32 exec_lo, exec_lo, s17
	v_sub_f32_e32 v0, v60, v61
                                        ; implicit-def: $vgpr56
	s_delay_alu instid0(VALU_DEP_1) | instskip(NEXT) | instid1(VALU_DEP_1)
	v_mul_f32_e32 v0, s21, v0
	v_and_b32_e32 v1, 0x7f800000, v0
	s_delay_alu instid0(VALU_DEP_1) | instskip(NEXT) | instid1(VALU_DEP_1)
	v_cmp_ne_u32_e64 s1, 0x7f800000, v1
	s_and_saveexec_b32 s17, s1
	s_delay_alu instid0(SALU_CYCLE_1)
	s_xor_b32 s1, exec_lo, s17
; %bb.353:
	v_bfe_u32 v1, v0, 16, 1
	s_delay_alu instid0(VALU_DEP_1)
	v_add3_u32 v56, v0, v1, 0x7fff
                                        ; implicit-def: $vgpr0
; %bb.354:
	s_and_not1_saveexec_b32 s17, s1
; %bb.355:
	v_and_b32_e32 v1, 0xffff, v0
	v_or_b32_e32 v2, 0x10000, v0
	s_delay_alu instid0(VALU_DEP_2) | instskip(NEXT) | instid1(VALU_DEP_1)
	v_cmp_eq_u32_e64 s1, 0, v1
	v_cndmask_b32_e64 v56, v2, v0, s1
; %bb.356:
	s_or_b32 exec_lo, exec_lo, s17
	v_sub_f32_e32 v0, v62, v63
                                        ; implicit-def: $vgpr57
	s_delay_alu instid0(VALU_DEP_1) | instskip(NEXT) | instid1(VALU_DEP_1)
	v_mul_f32_e32 v0, s21, v0
	v_and_b32_e32 v1, 0x7f800000, v0
	s_delay_alu instid0(VALU_DEP_1) | instskip(NEXT) | instid1(VALU_DEP_1)
	v_cmp_ne_u32_e64 s1, 0x7f800000, v1
	s_and_saveexec_b32 s17, s1
	s_delay_alu instid0(SALU_CYCLE_1)
	s_xor_b32 s1, exec_lo, s17
; %bb.357:
	v_bfe_u32 v1, v0, 16, 1
	s_delay_alu instid0(VALU_DEP_1)
	v_add3_u32 v57, v0, v1, 0x7fff
                                        ; implicit-def: $vgpr0
; %bb.358:
	s_and_not1_saveexec_b32 s17, s1
; %bb.359:
	v_and_b32_e32 v1, 0xffff, v0
	v_or_b32_e32 v2, 0x10000, v0
	s_delay_alu instid0(VALU_DEP_2) | instskip(NEXT) | instid1(VALU_DEP_1)
	v_cmp_eq_u32_e64 s1, 0, v1
	v_cndmask_b32_e64 v57, v2, v0, s1
; %bb.360:
	s_or_b32 exec_lo, exec_lo, s17
	v_sub_f32_e32 v0, v77, v78
                                        ; implicit-def: $vgpr58
	s_delay_alu instid0(VALU_DEP_1) | instskip(NEXT) | instid1(VALU_DEP_1)
	v_mul_f32_e32 v0, s21, v0
	v_and_b32_e32 v1, 0x7f800000, v0
	s_delay_alu instid0(VALU_DEP_1) | instskip(NEXT) | instid1(VALU_DEP_1)
	v_cmp_ne_u32_e64 s1, 0x7f800000, v1
	s_and_saveexec_b32 s17, s1
	s_delay_alu instid0(SALU_CYCLE_1)
	s_xor_b32 s1, exec_lo, s17
; %bb.361:
	v_bfe_u32 v1, v0, 16, 1
	s_delay_alu instid0(VALU_DEP_1)
	v_add3_u32 v58, v0, v1, 0x7fff
                                        ; implicit-def: $vgpr0
; %bb.362:
	s_and_not1_saveexec_b32 s17, s1
; %bb.363:
	v_and_b32_e32 v1, 0xffff, v0
	v_or_b32_e32 v2, 0x10000, v0
	s_delay_alu instid0(VALU_DEP_2) | instskip(NEXT) | instid1(VALU_DEP_1)
	v_cmp_eq_u32_e64 s1, 0, v1
	v_cndmask_b32_e64 v58, v2, v0, s1
; %bb.364:
	s_or_b32 exec_lo, exec_lo, s17
	v_sub_f32_e32 v0, v79, v80
                                        ; implicit-def: $vgpr59
	s_delay_alu instid0(VALU_DEP_1) | instskip(NEXT) | instid1(VALU_DEP_1)
	v_mul_f32_e32 v0, s21, v0
	v_and_b32_e32 v1, 0x7f800000, v0
	s_delay_alu instid0(VALU_DEP_1) | instskip(NEXT) | instid1(VALU_DEP_1)
	v_cmp_ne_u32_e64 s1, 0x7f800000, v1
	s_and_saveexec_b32 s17, s1
	s_delay_alu instid0(SALU_CYCLE_1)
	s_xor_b32 s1, exec_lo, s17
; %bb.365:
	v_bfe_u32 v1, v0, 16, 1
	s_delay_alu instid0(VALU_DEP_1)
	v_add3_u32 v59, v0, v1, 0x7fff
                                        ; implicit-def: $vgpr0
; %bb.366:
	s_and_not1_saveexec_b32 s17, s1
; %bb.367:
	v_and_b32_e32 v1, 0xffff, v0
	v_or_b32_e32 v2, 0x10000, v0
	s_delay_alu instid0(VALU_DEP_2) | instskip(NEXT) | instid1(VALU_DEP_1)
	v_cmp_eq_u32_e64 s1, 0, v1
	v_cndmask_b32_e64 v59, v2, v0, s1
; %bb.368:
	s_or_b32 exec_lo, exec_lo, s17
	v_sub_f32_e32 v0, v81, v82
                                        ; implicit-def: $vgpr60
	s_delay_alu instid0(VALU_DEP_1) | instskip(NEXT) | instid1(VALU_DEP_1)
	v_mul_f32_e32 v0, s21, v0
	v_and_b32_e32 v1, 0x7f800000, v0
	s_delay_alu instid0(VALU_DEP_1) | instskip(NEXT) | instid1(VALU_DEP_1)
	v_cmp_ne_u32_e64 s1, 0x7f800000, v1
	s_and_saveexec_b32 s17, s1
	s_delay_alu instid0(SALU_CYCLE_1)
	s_xor_b32 s1, exec_lo, s17
; %bb.369:
	v_bfe_u32 v1, v0, 16, 1
	s_delay_alu instid0(VALU_DEP_1)
	v_add3_u32 v60, v0, v1, 0x7fff
                                        ; implicit-def: $vgpr0
; %bb.370:
	s_and_not1_saveexec_b32 s17, s1
; %bb.371:
	v_and_b32_e32 v1, 0xffff, v0
	v_or_b32_e32 v2, 0x10000, v0
	s_delay_alu instid0(VALU_DEP_2) | instskip(NEXT) | instid1(VALU_DEP_1)
	v_cmp_eq_u32_e64 s1, 0, v1
	v_cndmask_b32_e64 v60, v2, v0, s1
; %bb.372:
	s_or_b32 exec_lo, exec_lo, s17
	v_sub_f32_e32 v0, v83, v84
                                        ; implicit-def: $vgpr61
	s_delay_alu instid0(VALU_DEP_1) | instskip(NEXT) | instid1(VALU_DEP_1)
	v_mul_f32_e32 v0, s21, v0
	v_and_b32_e32 v1, 0x7f800000, v0
	s_delay_alu instid0(VALU_DEP_1) | instskip(NEXT) | instid1(VALU_DEP_1)
	v_cmp_ne_u32_e64 s1, 0x7f800000, v1
	s_and_saveexec_b32 s17, s1
	s_delay_alu instid0(SALU_CYCLE_1)
	s_xor_b32 s1, exec_lo, s17
; %bb.373:
	v_bfe_u32 v1, v0, 16, 1
	s_delay_alu instid0(VALU_DEP_1)
	v_add3_u32 v61, v0, v1, 0x7fff
                                        ; implicit-def: $vgpr0
; %bb.374:
	s_and_not1_saveexec_b32 s17, s1
; %bb.375:
	v_and_b32_e32 v1, 0xffff, v0
	v_or_b32_e32 v2, 0x10000, v0
	s_delay_alu instid0(VALU_DEP_2) | instskip(NEXT) | instid1(VALU_DEP_1)
	v_cmp_eq_u32_e64 s1, 0, v1
	v_cndmask_b32_e64 v61, v2, v0, s1
; %bb.376:
	s_or_b32 exec_lo, exec_lo, s17
	v_sub_f32_e32 v0, v85, v86
                                        ; implicit-def: $vgpr62
	s_delay_alu instid0(VALU_DEP_1) | instskip(NEXT) | instid1(VALU_DEP_1)
	v_mul_f32_e32 v0, s21, v0
	v_and_b32_e32 v1, 0x7f800000, v0
	s_delay_alu instid0(VALU_DEP_1) | instskip(NEXT) | instid1(VALU_DEP_1)
	v_cmp_ne_u32_e64 s1, 0x7f800000, v1
	s_and_saveexec_b32 s17, s1
	s_delay_alu instid0(SALU_CYCLE_1)
	s_xor_b32 s1, exec_lo, s17
; %bb.377:
	v_bfe_u32 v1, v0, 16, 1
	s_delay_alu instid0(VALU_DEP_1)
	v_add3_u32 v62, v0, v1, 0x7fff
                                        ; implicit-def: $vgpr0
; %bb.378:
	s_and_not1_saveexec_b32 s17, s1
; %bb.379:
	v_and_b32_e32 v1, 0xffff, v0
	v_or_b32_e32 v2, 0x10000, v0
	s_delay_alu instid0(VALU_DEP_2) | instskip(NEXT) | instid1(VALU_DEP_1)
	v_cmp_eq_u32_e64 s1, 0, v1
	v_cndmask_b32_e64 v62, v2, v0, s1
; %bb.380:
	s_or_b32 exec_lo, exec_lo, s17
	v_sub_f32_e32 v0, v87, v88
                                        ; implicit-def: $vgpr63
	s_delay_alu instid0(VALU_DEP_1) | instskip(NEXT) | instid1(VALU_DEP_1)
	v_mul_f32_e32 v0, s21, v0
	v_and_b32_e32 v1, 0x7f800000, v0
	s_delay_alu instid0(VALU_DEP_1) | instskip(NEXT) | instid1(VALU_DEP_1)
	v_cmp_ne_u32_e64 s1, 0x7f800000, v1
	s_and_saveexec_b32 s17, s1
	s_delay_alu instid0(SALU_CYCLE_1)
	s_xor_b32 s1, exec_lo, s17
; %bb.381:
	v_bfe_u32 v1, v0, 16, 1
	s_delay_alu instid0(VALU_DEP_1)
	v_add3_u32 v63, v0, v1, 0x7fff
                                        ; implicit-def: $vgpr0
; %bb.382:
	s_and_not1_saveexec_b32 s17, s1
; %bb.383:
	v_and_b32_e32 v1, 0xffff, v0
	v_or_b32_e32 v2, 0x10000, v0
	s_delay_alu instid0(VALU_DEP_2) | instskip(NEXT) | instid1(VALU_DEP_1)
	v_cmp_eq_u32_e64 s1, 0, v1
	v_cndmask_b32_e64 v63, v2, v0, s1
; %bb.384:
	s_or_b32 exec_lo, exec_lo, s17
	v_sub_f32_e32 v0, v90, v91
                                        ; implicit-def: $vgpr72
	s_delay_alu instid0(VALU_DEP_1) | instskip(NEXT) | instid1(VALU_DEP_1)
	v_mul_f32_e32 v0, s21, v0
	v_and_b32_e32 v1, 0x7f800000, v0
	s_delay_alu instid0(VALU_DEP_1) | instskip(NEXT) | instid1(VALU_DEP_1)
	v_cmp_ne_u32_e64 s1, 0x7f800000, v1
	s_and_saveexec_b32 s17, s1
	s_delay_alu instid0(SALU_CYCLE_1)
	s_xor_b32 s1, exec_lo, s17
; %bb.385:
	v_bfe_u32 v1, v0, 16, 1
	s_delay_alu instid0(VALU_DEP_1)
	v_add3_u32 v72, v0, v1, 0x7fff
                                        ; implicit-def: $vgpr0
; %bb.386:
	s_and_not1_saveexec_b32 s17, s1
; %bb.387:
	v_and_b32_e32 v1, 0xffff, v0
	v_or_b32_e32 v2, 0x10000, v0
	s_delay_alu instid0(VALU_DEP_2) | instskip(NEXT) | instid1(VALU_DEP_1)
	v_cmp_eq_u32_e64 s1, 0, v1
	v_cndmask_b32_e64 v72, v2, v0, s1
; %bb.388:
	s_or_b32 exec_lo, exec_lo, s17
	v_sub_f32_e32 v0, v92, v93
                                        ; implicit-def: $vgpr73
	s_delay_alu instid0(VALU_DEP_1) | instskip(NEXT) | instid1(VALU_DEP_1)
	v_mul_f32_e32 v0, s21, v0
	v_and_b32_e32 v1, 0x7f800000, v0
	s_delay_alu instid0(VALU_DEP_1) | instskip(NEXT) | instid1(VALU_DEP_1)
	v_cmp_ne_u32_e64 s1, 0x7f800000, v1
	s_and_saveexec_b32 s17, s1
	s_delay_alu instid0(SALU_CYCLE_1)
	s_xor_b32 s1, exec_lo, s17
; %bb.389:
	v_bfe_u32 v1, v0, 16, 1
	s_delay_alu instid0(VALU_DEP_1)
	v_add3_u32 v73, v0, v1, 0x7fff
                                        ; implicit-def: $vgpr0
; %bb.390:
	s_and_not1_saveexec_b32 s17, s1
; %bb.391:
	v_and_b32_e32 v1, 0xffff, v0
	v_or_b32_e32 v2, 0x10000, v0
	s_delay_alu instid0(VALU_DEP_2) | instskip(NEXT) | instid1(VALU_DEP_1)
	v_cmp_eq_u32_e64 s1, 0, v1
	v_cndmask_b32_e64 v73, v2, v0, s1
; %bb.392:
	s_or_b32 exec_lo, exec_lo, s17
	v_sub_f32_e32 v0, v94, v95
                                        ; implicit-def: $vgpr74
	s_delay_alu instid0(VALU_DEP_1) | instskip(NEXT) | instid1(VALU_DEP_1)
	v_mul_f32_e32 v0, s21, v0
	v_and_b32_e32 v1, 0x7f800000, v0
	s_delay_alu instid0(VALU_DEP_1) | instskip(NEXT) | instid1(VALU_DEP_1)
	v_cmp_ne_u32_e64 s1, 0x7f800000, v1
	s_and_saveexec_b32 s17, s1
	s_delay_alu instid0(SALU_CYCLE_1)
	s_xor_b32 s1, exec_lo, s17
; %bb.393:
	v_bfe_u32 v1, v0, 16, 1
	s_delay_alu instid0(VALU_DEP_1)
	v_add3_u32 v74, v0, v1, 0x7fff
                                        ; implicit-def: $vgpr0
; %bb.394:
	s_and_not1_saveexec_b32 s17, s1
; %bb.395:
	v_and_b32_e32 v1, 0xffff, v0
	v_or_b32_e32 v2, 0x10000, v0
	s_delay_alu instid0(VALU_DEP_2) | instskip(NEXT) | instid1(VALU_DEP_1)
	v_cmp_eq_u32_e64 s1, 0, v1
	v_cndmask_b32_e64 v74, v2, v0, s1
; %bb.396:
	s_or_b32 exec_lo, exec_lo, s17
	v_sub_f32_e32 v0, v96, v97
                                        ; implicit-def: $vgpr75
	s_delay_alu instid0(VALU_DEP_1) | instskip(NEXT) | instid1(VALU_DEP_1)
	v_mul_f32_e32 v0, s21, v0
	v_and_b32_e32 v1, 0x7f800000, v0
	s_delay_alu instid0(VALU_DEP_1) | instskip(NEXT) | instid1(VALU_DEP_1)
	v_cmp_ne_u32_e64 s1, 0x7f800000, v1
	s_and_saveexec_b32 s17, s1
	s_delay_alu instid0(SALU_CYCLE_1)
	s_xor_b32 s1, exec_lo, s17
; %bb.397:
	v_bfe_u32 v1, v0, 16, 1
	s_delay_alu instid0(VALU_DEP_1)
	v_add3_u32 v75, v0, v1, 0x7fff
                                        ; implicit-def: $vgpr0
; %bb.398:
	s_and_not1_saveexec_b32 s17, s1
; %bb.399:
	v_and_b32_e32 v1, 0xffff, v0
	v_or_b32_e32 v2, 0x10000, v0
	s_delay_alu instid0(VALU_DEP_2) | instskip(NEXT) | instid1(VALU_DEP_1)
	v_cmp_eq_u32_e64 s1, 0, v1
	v_cndmask_b32_e64 v75, v2, v0, s1
; %bb.400:
	s_or_b32 exec_lo, exec_lo, s17
	v_sub_f32_e32 v0, v98, v99
                                        ; implicit-def: $vgpr77
	s_delay_alu instid0(VALU_DEP_1) | instskip(NEXT) | instid1(VALU_DEP_1)
	v_mul_f32_e32 v0, s21, v0
	v_and_b32_e32 v1, 0x7f800000, v0
	s_delay_alu instid0(VALU_DEP_1) | instskip(NEXT) | instid1(VALU_DEP_1)
	v_cmp_ne_u32_e64 s1, 0x7f800000, v1
	s_and_saveexec_b32 s17, s1
	s_delay_alu instid0(SALU_CYCLE_1)
	s_xor_b32 s1, exec_lo, s17
; %bb.401:
	v_bfe_u32 v1, v0, 16, 1
	s_delay_alu instid0(VALU_DEP_1)
	v_add3_u32 v77, v0, v1, 0x7fff
                                        ; implicit-def: $vgpr0
; %bb.402:
	s_and_not1_saveexec_b32 s17, s1
; %bb.403:
	v_and_b32_e32 v1, 0xffff, v0
	v_or_b32_e32 v2, 0x10000, v0
	s_delay_alu instid0(VALU_DEP_2) | instskip(NEXT) | instid1(VALU_DEP_1)
	v_cmp_eq_u32_e64 s1, 0, v1
	v_cndmask_b32_e64 v77, v2, v0, s1
; %bb.404:
	s_or_b32 exec_lo, exec_lo, s17
	v_sub_f32_e32 v0, v100, v101
                                        ; implicit-def: $vgpr78
	s_delay_alu instid0(VALU_DEP_1) | instskip(NEXT) | instid1(VALU_DEP_1)
	v_mul_f32_e32 v0, s21, v0
	v_and_b32_e32 v1, 0x7f800000, v0
	s_delay_alu instid0(VALU_DEP_1) | instskip(NEXT) | instid1(VALU_DEP_1)
	v_cmp_ne_u32_e64 s1, 0x7f800000, v1
	s_and_saveexec_b32 s17, s1
	s_delay_alu instid0(SALU_CYCLE_1)
	s_xor_b32 s1, exec_lo, s17
; %bb.405:
	v_bfe_u32 v1, v0, 16, 1
	s_delay_alu instid0(VALU_DEP_1)
	v_add3_u32 v78, v0, v1, 0x7fff
                                        ; implicit-def: $vgpr0
; %bb.406:
	s_and_not1_saveexec_b32 s17, s1
; %bb.407:
	v_and_b32_e32 v1, 0xffff, v0
	v_or_b32_e32 v2, 0x10000, v0
	s_delay_alu instid0(VALU_DEP_2) | instskip(NEXT) | instid1(VALU_DEP_1)
	v_cmp_eq_u32_e64 s1, 0, v1
	v_cndmask_b32_e64 v78, v2, v0, s1
; %bb.408:
	s_or_b32 exec_lo, exec_lo, s17
	v_sub_f32_e32 v0, v103, v104
                                        ; implicit-def: $vgpr79
	s_delay_alu instid0(VALU_DEP_1) | instskip(NEXT) | instid1(VALU_DEP_1)
	v_mul_f32_e32 v0, s21, v0
	v_and_b32_e32 v1, 0x7f800000, v0
	s_delay_alu instid0(VALU_DEP_1) | instskip(NEXT) | instid1(VALU_DEP_1)
	v_cmp_ne_u32_e64 s1, 0x7f800000, v1
	s_and_saveexec_b32 s17, s1
	s_delay_alu instid0(SALU_CYCLE_1)
	s_xor_b32 s1, exec_lo, s17
; %bb.409:
	v_bfe_u32 v1, v0, 16, 1
	s_delay_alu instid0(VALU_DEP_1)
	v_add3_u32 v79, v0, v1, 0x7fff
                                        ; implicit-def: $vgpr0
; %bb.410:
	s_and_not1_saveexec_b32 s17, s1
; %bb.411:
	v_and_b32_e32 v1, 0xffff, v0
	v_or_b32_e32 v2, 0x10000, v0
	s_delay_alu instid0(VALU_DEP_2) | instskip(NEXT) | instid1(VALU_DEP_1)
	v_cmp_eq_u32_e64 s1, 0, v1
	v_cndmask_b32_e64 v79, v2, v0, s1
; %bb.412:
	s_or_b32 exec_lo, exec_lo, s17
	v_sub_f32_e32 v0, v105, v106
                                        ; implicit-def: $vgpr80
	s_delay_alu instid0(VALU_DEP_1) | instskip(NEXT) | instid1(VALU_DEP_1)
	v_mul_f32_e32 v0, s21, v0
	v_and_b32_e32 v1, 0x7f800000, v0
	s_delay_alu instid0(VALU_DEP_1) | instskip(NEXT) | instid1(VALU_DEP_1)
	v_cmp_ne_u32_e64 s1, 0x7f800000, v1
	s_and_saveexec_b32 s17, s1
	s_delay_alu instid0(SALU_CYCLE_1)
	s_xor_b32 s1, exec_lo, s17
; %bb.413:
	v_bfe_u32 v1, v0, 16, 1
	s_delay_alu instid0(VALU_DEP_1)
	v_add3_u32 v80, v0, v1, 0x7fff
                                        ; implicit-def: $vgpr0
; %bb.414:
	s_and_not1_saveexec_b32 s17, s1
; %bb.415:
	v_and_b32_e32 v1, 0xffff, v0
	v_or_b32_e32 v2, 0x10000, v0
	s_delay_alu instid0(VALU_DEP_2) | instskip(NEXT) | instid1(VALU_DEP_1)
	v_cmp_eq_u32_e64 s1, 0, v1
	v_cndmask_b32_e64 v80, v2, v0, s1
; %bb.416:
	s_or_b32 exec_lo, exec_lo, s17
	v_sub_f32_e32 v0, v107, v108
                                        ; implicit-def: $vgpr81
	s_delay_alu instid0(VALU_DEP_1) | instskip(NEXT) | instid1(VALU_DEP_1)
	v_mul_f32_e32 v0, s21, v0
	v_and_b32_e32 v1, 0x7f800000, v0
	s_delay_alu instid0(VALU_DEP_1) | instskip(NEXT) | instid1(VALU_DEP_1)
	v_cmp_ne_u32_e64 s1, 0x7f800000, v1
	s_and_saveexec_b32 s17, s1
	s_delay_alu instid0(SALU_CYCLE_1)
	s_xor_b32 s1, exec_lo, s17
; %bb.417:
	v_bfe_u32 v1, v0, 16, 1
	s_delay_alu instid0(VALU_DEP_1)
	v_add3_u32 v81, v0, v1, 0x7fff
                                        ; implicit-def: $vgpr0
; %bb.418:
	s_and_not1_saveexec_b32 s17, s1
; %bb.419:
	v_and_b32_e32 v1, 0xffff, v0
	v_or_b32_e32 v2, 0x10000, v0
	s_delay_alu instid0(VALU_DEP_2) | instskip(NEXT) | instid1(VALU_DEP_1)
	v_cmp_eq_u32_e64 s1, 0, v1
	v_cndmask_b32_e64 v81, v2, v0, s1
; %bb.420:
	s_or_b32 exec_lo, exec_lo, s17
	v_sub_f32_e32 v0, v109, v110
                                        ; implicit-def: $vgpr82
	s_delay_alu instid0(VALU_DEP_1) | instskip(NEXT) | instid1(VALU_DEP_1)
	v_mul_f32_e32 v0, s21, v0
	v_and_b32_e32 v1, 0x7f800000, v0
	s_delay_alu instid0(VALU_DEP_1) | instskip(NEXT) | instid1(VALU_DEP_1)
	v_cmp_ne_u32_e64 s1, 0x7f800000, v1
	s_and_saveexec_b32 s17, s1
	s_delay_alu instid0(SALU_CYCLE_1)
	s_xor_b32 s1, exec_lo, s17
; %bb.421:
	v_bfe_u32 v1, v0, 16, 1
	s_delay_alu instid0(VALU_DEP_1)
	v_add3_u32 v82, v0, v1, 0x7fff
                                        ; implicit-def: $vgpr0
; %bb.422:
	s_and_not1_saveexec_b32 s17, s1
; %bb.423:
	v_and_b32_e32 v1, 0xffff, v0
	v_or_b32_e32 v2, 0x10000, v0
	s_delay_alu instid0(VALU_DEP_2) | instskip(NEXT) | instid1(VALU_DEP_1)
	v_cmp_eq_u32_e64 s1, 0, v1
	v_cndmask_b32_e64 v82, v2, v0, s1
; %bb.424:
	s_or_b32 exec_lo, exec_lo, s17
	v_sub_f32_e32 v0, v111, v112
                                        ; implicit-def: $vgpr83
	s_delay_alu instid0(VALU_DEP_1) | instskip(NEXT) | instid1(VALU_DEP_1)
	v_mul_f32_e32 v0, s21, v0
	v_and_b32_e32 v1, 0x7f800000, v0
	s_delay_alu instid0(VALU_DEP_1) | instskip(NEXT) | instid1(VALU_DEP_1)
	v_cmp_ne_u32_e64 s1, 0x7f800000, v1
	s_and_saveexec_b32 s17, s1
	s_delay_alu instid0(SALU_CYCLE_1)
	s_xor_b32 s1, exec_lo, s17
; %bb.425:
	v_bfe_u32 v1, v0, 16, 1
	s_delay_alu instid0(VALU_DEP_1)
	v_add3_u32 v83, v0, v1, 0x7fff
                                        ; implicit-def: $vgpr0
; %bb.426:
	s_and_not1_saveexec_b32 s17, s1
; %bb.427:
	v_and_b32_e32 v1, 0xffff, v0
	v_or_b32_e32 v2, 0x10000, v0
	s_delay_alu instid0(VALU_DEP_2) | instskip(NEXT) | instid1(VALU_DEP_1)
	v_cmp_eq_u32_e64 s1, 0, v1
	v_cndmask_b32_e64 v83, v2, v0, s1
; %bb.428:
	s_or_b32 exec_lo, exec_lo, s17
	v_sub_f32_e32 v0, v113, v114
                                        ; implicit-def: $vgpr84
	s_delay_alu instid0(VALU_DEP_1) | instskip(NEXT) | instid1(VALU_DEP_1)
	v_mul_f32_e32 v0, s21, v0
	v_and_b32_e32 v1, 0x7f800000, v0
	s_delay_alu instid0(VALU_DEP_1) | instskip(NEXT) | instid1(VALU_DEP_1)
	v_cmp_ne_u32_e64 s1, 0x7f800000, v1
	s_and_saveexec_b32 s17, s1
	s_delay_alu instid0(SALU_CYCLE_1)
	s_xor_b32 s1, exec_lo, s17
; %bb.429:
	v_bfe_u32 v1, v0, 16, 1
	s_delay_alu instid0(VALU_DEP_1)
	v_add3_u32 v84, v0, v1, 0x7fff
                                        ; implicit-def: $vgpr0
; %bb.430:
	s_and_not1_saveexec_b32 s17, s1
; %bb.431:
	v_and_b32_e32 v1, 0xffff, v0
	v_or_b32_e32 v2, 0x10000, v0
	s_delay_alu instid0(VALU_DEP_2) | instskip(NEXT) | instid1(VALU_DEP_1)
	v_cmp_eq_u32_e64 s1, 0, v1
	v_cndmask_b32_e64 v84, v2, v0, s1
; %bb.432:
	s_or_b32 exec_lo, exec_lo, s17
	v_sub_f32_e32 v0, v115, v116
                                        ; implicit-def: $vgpr85
	s_delay_alu instid0(VALU_DEP_1) | instskip(NEXT) | instid1(VALU_DEP_1)
	v_mul_f32_e32 v0, s21, v0
	v_and_b32_e32 v1, 0x7f800000, v0
	s_delay_alu instid0(VALU_DEP_1) | instskip(NEXT) | instid1(VALU_DEP_1)
	v_cmp_ne_u32_e64 s1, 0x7f800000, v1
	s_and_saveexec_b32 s17, s1
	s_delay_alu instid0(SALU_CYCLE_1)
	s_xor_b32 s1, exec_lo, s17
; %bb.433:
	v_bfe_u32 v1, v0, 16, 1
	s_delay_alu instid0(VALU_DEP_1)
	v_add3_u32 v85, v0, v1, 0x7fff
                                        ; implicit-def: $vgpr0
; %bb.434:
	s_and_not1_saveexec_b32 s17, s1
; %bb.435:
	v_and_b32_e32 v1, 0xffff, v0
	v_or_b32_e32 v2, 0x10000, v0
	s_delay_alu instid0(VALU_DEP_2) | instskip(NEXT) | instid1(VALU_DEP_1)
	v_cmp_eq_u32_e64 s1, 0, v1
	v_cndmask_b32_e64 v85, v2, v0, s1
; %bb.436:
	s_or_b32 exec_lo, exec_lo, s17
	v_sub_f32_e32 v0, v117, v118
                                        ; implicit-def: $vgpr86
	s_delay_alu instid0(VALU_DEP_1) | instskip(NEXT) | instid1(VALU_DEP_1)
	v_mul_f32_e32 v0, s21, v0
	v_and_b32_e32 v1, 0x7f800000, v0
	s_delay_alu instid0(VALU_DEP_1) | instskip(NEXT) | instid1(VALU_DEP_1)
	v_cmp_ne_u32_e64 s1, 0x7f800000, v1
	s_and_saveexec_b32 s17, s1
	s_delay_alu instid0(SALU_CYCLE_1)
	s_xor_b32 s1, exec_lo, s17
; %bb.437:
	v_bfe_u32 v1, v0, 16, 1
	s_delay_alu instid0(VALU_DEP_1)
	v_add3_u32 v86, v0, v1, 0x7fff
                                        ; implicit-def: $vgpr0
; %bb.438:
	s_and_not1_saveexec_b32 s17, s1
; %bb.439:
	v_and_b32_e32 v1, 0xffff, v0
	v_or_b32_e32 v2, 0x10000, v0
	s_delay_alu instid0(VALU_DEP_2) | instskip(NEXT) | instid1(VALU_DEP_1)
	v_cmp_eq_u32_e64 s1, 0, v1
	v_cndmask_b32_e64 v86, v2, v0, s1
; %bb.440:
	s_or_b32 exec_lo, exec_lo, s17
	v_sub_f32_e32 v0, v119, v120
                                        ; implicit-def: $vgpr87
	s_delay_alu instid0(VALU_DEP_1) | instskip(NEXT) | instid1(VALU_DEP_1)
	v_mul_f32_e32 v0, s21, v0
	v_and_b32_e32 v1, 0x7f800000, v0
	s_delay_alu instid0(VALU_DEP_1) | instskip(NEXT) | instid1(VALU_DEP_1)
	v_cmp_ne_u32_e64 s1, 0x7f800000, v1
	s_and_saveexec_b32 s17, s1
	s_delay_alu instid0(SALU_CYCLE_1)
	s_xor_b32 s1, exec_lo, s17
; %bb.441:
	v_bfe_u32 v1, v0, 16, 1
	s_delay_alu instid0(VALU_DEP_1)
	v_add3_u32 v87, v0, v1, 0x7fff
                                        ; implicit-def: $vgpr0
; %bb.442:
	s_and_not1_saveexec_b32 s17, s1
; %bb.443:
	v_and_b32_e32 v1, 0xffff, v0
	v_or_b32_e32 v2, 0x10000, v0
	s_delay_alu instid0(VALU_DEP_2) | instskip(NEXT) | instid1(VALU_DEP_1)
	v_cmp_eq_u32_e64 s1, 0, v1
	v_cndmask_b32_e64 v87, v2, v0, s1
; %bb.444:
	s_or_b32 exec_lo, exec_lo, s17
	v_sub_f32_e32 v0, v121, v122
                                        ; implicit-def: $vgpr88
	s_delay_alu instid0(VALU_DEP_1) | instskip(NEXT) | instid1(VALU_DEP_1)
	v_mul_f32_e32 v0, s21, v0
	v_and_b32_e32 v1, 0x7f800000, v0
	s_delay_alu instid0(VALU_DEP_1) | instskip(NEXT) | instid1(VALU_DEP_1)
	v_cmp_ne_u32_e64 s1, 0x7f800000, v1
	s_and_saveexec_b32 s17, s1
	s_delay_alu instid0(SALU_CYCLE_1)
	s_xor_b32 s1, exec_lo, s17
; %bb.445:
	v_bfe_u32 v1, v0, 16, 1
	s_delay_alu instid0(VALU_DEP_1)
	v_add3_u32 v88, v0, v1, 0x7fff
                                        ; implicit-def: $vgpr0
; %bb.446:
	s_and_not1_saveexec_b32 s17, s1
; %bb.447:
	v_and_b32_e32 v1, 0xffff, v0
	v_or_b32_e32 v2, 0x10000, v0
	s_delay_alu instid0(VALU_DEP_2) | instskip(NEXT) | instid1(VALU_DEP_1)
	v_cmp_eq_u32_e64 s1, 0, v1
	v_cndmask_b32_e64 v88, v2, v0, s1
; %bb.448:
	s_or_b32 exec_lo, exec_lo, s17
	v_sub_f32_e32 v0, v123, v124
                                        ; implicit-def: $vgpr90
	s_delay_alu instid0(VALU_DEP_1) | instskip(NEXT) | instid1(VALU_DEP_1)
	v_mul_f32_e32 v0, s21, v0
	v_and_b32_e32 v1, 0x7f800000, v0
	s_delay_alu instid0(VALU_DEP_1) | instskip(NEXT) | instid1(VALU_DEP_1)
	v_cmp_ne_u32_e64 s1, 0x7f800000, v1
	s_and_saveexec_b32 s17, s1
	s_delay_alu instid0(SALU_CYCLE_1)
	s_xor_b32 s1, exec_lo, s17
; %bb.449:
	v_bfe_u32 v1, v0, 16, 1
	s_delay_alu instid0(VALU_DEP_1)
	v_add3_u32 v90, v0, v1, 0x7fff
                                        ; implicit-def: $vgpr0
; %bb.450:
	s_and_not1_saveexec_b32 s17, s1
; %bb.451:
	v_and_b32_e32 v1, 0xffff, v0
	v_or_b32_e32 v2, 0x10000, v0
	s_delay_alu instid0(VALU_DEP_2) | instskip(NEXT) | instid1(VALU_DEP_1)
	v_cmp_eq_u32_e64 s1, 0, v1
	v_cndmask_b32_e64 v90, v2, v0, s1
; %bb.452:
	s_or_b32 exec_lo, exec_lo, s17
	v_sub_f32_e32 v0, v125, v126
                                        ; implicit-def: $vgpr91
	s_delay_alu instid0(VALU_DEP_1) | instskip(NEXT) | instid1(VALU_DEP_1)
	v_mul_f32_e32 v0, s21, v0
	v_and_b32_e32 v1, 0x7f800000, v0
	s_delay_alu instid0(VALU_DEP_1) | instskip(NEXT) | instid1(VALU_DEP_1)
	v_cmp_ne_u32_e64 s1, 0x7f800000, v1
	s_and_saveexec_b32 s17, s1
	s_delay_alu instid0(SALU_CYCLE_1)
	s_xor_b32 s1, exec_lo, s17
; %bb.453:
	v_bfe_u32 v1, v0, 16, 1
	s_delay_alu instid0(VALU_DEP_1)
	v_add3_u32 v91, v0, v1, 0x7fff
                                        ; implicit-def: $vgpr0
; %bb.454:
	s_and_not1_saveexec_b32 s17, s1
; %bb.455:
	v_and_b32_e32 v1, 0xffff, v0
	v_or_b32_e32 v2, 0x10000, v0
	s_delay_alu instid0(VALU_DEP_2) | instskip(NEXT) | instid1(VALU_DEP_1)
	v_cmp_eq_u32_e64 s1, 0, v1
	v_cndmask_b32_e64 v91, v2, v0, s1
; %bb.456:
	s_or_b32 exec_lo, exec_lo, s17
	v_sub_f32_e32 v0, v127, v168
                                        ; implicit-def: $vgpr92
	s_delay_alu instid0(VALU_DEP_1) | instskip(NEXT) | instid1(VALU_DEP_1)
	v_mul_f32_e32 v0, s21, v0
	v_and_b32_e32 v1, 0x7f800000, v0
	s_delay_alu instid0(VALU_DEP_1) | instskip(NEXT) | instid1(VALU_DEP_1)
	v_cmp_ne_u32_e64 s1, 0x7f800000, v1
	s_and_saveexec_b32 s17, s1
	s_delay_alu instid0(SALU_CYCLE_1)
	s_xor_b32 s1, exec_lo, s17
; %bb.457:
	v_bfe_u32 v1, v0, 16, 1
	s_delay_alu instid0(VALU_DEP_1)
	v_add3_u32 v92, v0, v1, 0x7fff
                                        ; implicit-def: $vgpr0
; %bb.458:
	s_and_not1_saveexec_b32 s17, s1
; %bb.459:
	v_and_b32_e32 v1, 0xffff, v0
	v_or_b32_e32 v2, 0x10000, v0
	s_delay_alu instid0(VALU_DEP_2) | instskip(NEXT) | instid1(VALU_DEP_1)
	v_cmp_eq_u32_e64 s1, 0, v1
	v_cndmask_b32_e64 v92, v2, v0, s1
; %bb.460:
	s_or_b32 exec_lo, exec_lo, s17
	v_sub_f32_e32 v0, v169, v170
                                        ; implicit-def: $vgpr93
	s_delay_alu instid0(VALU_DEP_1) | instskip(NEXT) | instid1(VALU_DEP_1)
	v_mul_f32_e32 v0, s21, v0
	v_and_b32_e32 v1, 0x7f800000, v0
	s_delay_alu instid0(VALU_DEP_1) | instskip(NEXT) | instid1(VALU_DEP_1)
	v_cmp_ne_u32_e64 s1, 0x7f800000, v1
	s_and_saveexec_b32 s17, s1
	s_delay_alu instid0(SALU_CYCLE_1)
	s_xor_b32 s1, exec_lo, s17
; %bb.461:
	v_bfe_u32 v1, v0, 16, 1
	s_delay_alu instid0(VALU_DEP_1)
	v_add3_u32 v93, v0, v1, 0x7fff
                                        ; implicit-def: $vgpr0
; %bb.462:
	s_and_not1_saveexec_b32 s17, s1
; %bb.463:
	v_and_b32_e32 v1, 0xffff, v0
	v_or_b32_e32 v2, 0x10000, v0
	s_delay_alu instid0(VALU_DEP_2) | instskip(NEXT) | instid1(VALU_DEP_1)
	v_cmp_eq_u32_e64 s1, 0, v1
	v_cndmask_b32_e64 v93, v2, v0, s1
; %bb.464:
	s_or_b32 exec_lo, exec_lo, s17
	v_sub_f32_e32 v0, v171, v172
                                        ; implicit-def: $vgpr94
	s_delay_alu instid0(VALU_DEP_1) | instskip(NEXT) | instid1(VALU_DEP_1)
	v_mul_f32_e32 v0, s21, v0
	v_and_b32_e32 v1, 0x7f800000, v0
	s_delay_alu instid0(VALU_DEP_1) | instskip(NEXT) | instid1(VALU_DEP_1)
	v_cmp_ne_u32_e64 s1, 0x7f800000, v1
	s_and_saveexec_b32 s17, s1
	s_delay_alu instid0(SALU_CYCLE_1)
	s_xor_b32 s1, exec_lo, s17
; %bb.465:
	v_bfe_u32 v1, v0, 16, 1
	s_delay_alu instid0(VALU_DEP_1)
	v_add3_u32 v94, v0, v1, 0x7fff
                                        ; implicit-def: $vgpr0
; %bb.466:
	s_and_not1_saveexec_b32 s17, s1
; %bb.467:
	v_and_b32_e32 v1, 0xffff, v0
	v_or_b32_e32 v2, 0x10000, v0
	s_delay_alu instid0(VALU_DEP_2) | instskip(NEXT) | instid1(VALU_DEP_1)
	v_cmp_eq_u32_e64 s1, 0, v1
	v_cndmask_b32_e64 v94, v2, v0, s1
; %bb.468:
	s_or_b32 exec_lo, exec_lo, s17
	v_sub_f32_e32 v0, v173, v174
                                        ; implicit-def: $vgpr95
	s_delay_alu instid0(VALU_DEP_1) | instskip(NEXT) | instid1(VALU_DEP_1)
	v_mul_f32_e32 v0, s21, v0
	v_and_b32_e32 v1, 0x7f800000, v0
	s_delay_alu instid0(VALU_DEP_1) | instskip(NEXT) | instid1(VALU_DEP_1)
	v_cmp_ne_u32_e64 s1, 0x7f800000, v1
	s_and_saveexec_b32 s17, s1
	s_delay_alu instid0(SALU_CYCLE_1)
	s_xor_b32 s1, exec_lo, s17
; %bb.469:
	v_bfe_u32 v1, v0, 16, 1
	s_delay_alu instid0(VALU_DEP_1)
	v_add3_u32 v95, v0, v1, 0x7fff
                                        ; implicit-def: $vgpr0
; %bb.470:
	s_and_not1_saveexec_b32 s17, s1
; %bb.471:
	v_and_b32_e32 v1, 0xffff, v0
	v_or_b32_e32 v2, 0x10000, v0
	s_delay_alu instid0(VALU_DEP_2) | instskip(NEXT) | instid1(VALU_DEP_1)
	v_cmp_eq_u32_e64 s1, 0, v1
	v_cndmask_b32_e64 v95, v2, v0, s1
; %bb.472:
	s_or_b32 exec_lo, exec_lo, s17
	v_sub_f32_e32 v0, v175, v176
                                        ; implicit-def: $vgpr96
	s_delay_alu instid0(VALU_DEP_1) | instskip(NEXT) | instid1(VALU_DEP_1)
	v_mul_f32_e32 v0, s21, v0
	v_and_b32_e32 v1, 0x7f800000, v0
	s_delay_alu instid0(VALU_DEP_1) | instskip(NEXT) | instid1(VALU_DEP_1)
	v_cmp_ne_u32_e64 s1, 0x7f800000, v1
	s_and_saveexec_b32 s17, s1
	s_delay_alu instid0(SALU_CYCLE_1)
	s_xor_b32 s1, exec_lo, s17
; %bb.473:
	v_bfe_u32 v1, v0, 16, 1
	s_delay_alu instid0(VALU_DEP_1)
	v_add3_u32 v96, v0, v1, 0x7fff
                                        ; implicit-def: $vgpr0
; %bb.474:
	s_and_not1_saveexec_b32 s17, s1
; %bb.475:
	v_and_b32_e32 v1, 0xffff, v0
	v_or_b32_e32 v2, 0x10000, v0
	s_delay_alu instid0(VALU_DEP_2) | instskip(NEXT) | instid1(VALU_DEP_1)
	v_cmp_eq_u32_e64 s1, 0, v1
	v_cndmask_b32_e64 v96, v2, v0, s1
; %bb.476:
	s_or_b32 exec_lo, exec_lo, s17
	v_sub_f32_e32 v0, v177, v178
                                        ; implicit-def: $vgpr97
	s_delay_alu instid0(VALU_DEP_1) | instskip(NEXT) | instid1(VALU_DEP_1)
	v_mul_f32_e32 v0, s21, v0
	v_and_b32_e32 v1, 0x7f800000, v0
	s_delay_alu instid0(VALU_DEP_1) | instskip(NEXT) | instid1(VALU_DEP_1)
	v_cmp_ne_u32_e64 s1, 0x7f800000, v1
	s_and_saveexec_b32 s17, s1
	s_delay_alu instid0(SALU_CYCLE_1)
	s_xor_b32 s1, exec_lo, s17
; %bb.477:
	v_bfe_u32 v1, v0, 16, 1
	s_delay_alu instid0(VALU_DEP_1)
	v_add3_u32 v97, v0, v1, 0x7fff
                                        ; implicit-def: $vgpr0
; %bb.478:
	s_and_not1_saveexec_b32 s17, s1
; %bb.479:
	v_and_b32_e32 v1, 0xffff, v0
	v_or_b32_e32 v2, 0x10000, v0
	s_delay_alu instid0(VALU_DEP_2) | instskip(NEXT) | instid1(VALU_DEP_1)
	v_cmp_eq_u32_e64 s1, 0, v1
	v_cndmask_b32_e64 v97, v2, v0, s1
; %bb.480:
	s_or_b32 exec_lo, exec_lo, s17
	v_sub_f32_e32 v0, v179, v180
                                        ; implicit-def: $vgpr98
	s_delay_alu instid0(VALU_DEP_1) | instskip(NEXT) | instid1(VALU_DEP_1)
	v_mul_f32_e32 v0, s21, v0
	v_and_b32_e32 v1, 0x7f800000, v0
	s_delay_alu instid0(VALU_DEP_1) | instskip(NEXT) | instid1(VALU_DEP_1)
	v_cmp_ne_u32_e64 s1, 0x7f800000, v1
	s_and_saveexec_b32 s17, s1
	s_delay_alu instid0(SALU_CYCLE_1)
	s_xor_b32 s1, exec_lo, s17
; %bb.481:
	v_bfe_u32 v1, v0, 16, 1
	s_delay_alu instid0(VALU_DEP_1)
	v_add3_u32 v98, v0, v1, 0x7fff
                                        ; implicit-def: $vgpr0
; %bb.482:
	s_and_not1_saveexec_b32 s17, s1
; %bb.483:
	v_and_b32_e32 v1, 0xffff, v0
	v_or_b32_e32 v2, 0x10000, v0
	s_delay_alu instid0(VALU_DEP_2) | instskip(NEXT) | instid1(VALU_DEP_1)
	v_cmp_eq_u32_e64 s1, 0, v1
	v_cndmask_b32_e64 v98, v2, v0, s1
; %bb.484:
	s_or_b32 exec_lo, exec_lo, s17
	v_sub_f32_e32 v0, v181, v182
                                        ; implicit-def: $vgpr99
	s_delay_alu instid0(VALU_DEP_1) | instskip(NEXT) | instid1(VALU_DEP_1)
	v_mul_f32_e32 v0, s21, v0
	v_and_b32_e32 v1, 0x7f800000, v0
	s_delay_alu instid0(VALU_DEP_1) | instskip(NEXT) | instid1(VALU_DEP_1)
	v_cmp_ne_u32_e64 s1, 0x7f800000, v1
	s_and_saveexec_b32 s17, s1
	s_delay_alu instid0(SALU_CYCLE_1)
	s_xor_b32 s1, exec_lo, s17
; %bb.485:
	v_bfe_u32 v1, v0, 16, 1
	s_delay_alu instid0(VALU_DEP_1)
	v_add3_u32 v99, v0, v1, 0x7fff
                                        ; implicit-def: $vgpr0
; %bb.486:
	s_and_not1_saveexec_b32 s17, s1
; %bb.487:
	v_and_b32_e32 v1, 0xffff, v0
	v_or_b32_e32 v2, 0x10000, v0
	s_delay_alu instid0(VALU_DEP_2) | instskip(NEXT) | instid1(VALU_DEP_1)
	v_cmp_eq_u32_e64 s1, 0, v1
	v_cndmask_b32_e64 v99, v2, v0, s1
; %bb.488:
	s_or_b32 exec_lo, exec_lo, s17
	v_sub_f32_e32 v0, v183, v184
                                        ; implicit-def: $vgpr100
	s_delay_alu instid0(VALU_DEP_1) | instskip(NEXT) | instid1(VALU_DEP_1)
	v_mul_f32_e32 v0, s21, v0
	v_and_b32_e32 v1, 0x7f800000, v0
	s_delay_alu instid0(VALU_DEP_1) | instskip(NEXT) | instid1(VALU_DEP_1)
	v_cmp_ne_u32_e64 s1, 0x7f800000, v1
	s_and_saveexec_b32 s17, s1
	s_delay_alu instid0(SALU_CYCLE_1)
	s_xor_b32 s1, exec_lo, s17
; %bb.489:
	v_bfe_u32 v1, v0, 16, 1
	s_delay_alu instid0(VALU_DEP_1)
	v_add3_u32 v100, v0, v1, 0x7fff
                                        ; implicit-def: $vgpr0
; %bb.490:
	s_and_not1_saveexec_b32 s17, s1
; %bb.491:
	v_and_b32_e32 v1, 0xffff, v0
	v_or_b32_e32 v2, 0x10000, v0
	s_delay_alu instid0(VALU_DEP_2) | instskip(NEXT) | instid1(VALU_DEP_1)
	v_cmp_eq_u32_e64 s1, 0, v1
	v_cndmask_b32_e64 v100, v2, v0, s1
; %bb.492:
	s_or_b32 exec_lo, exec_lo, s17
	v_sub_f32_e32 v0, v185, v186
                                        ; implicit-def: $vgpr64
	s_delay_alu instid0(VALU_DEP_1) | instskip(NEXT) | instid1(VALU_DEP_1)
	v_mul_f32_e32 v0, s21, v0
	v_and_b32_e32 v1, 0x7f800000, v0
	s_delay_alu instid0(VALU_DEP_1) | instskip(NEXT) | instid1(VALU_DEP_1)
	v_cmp_ne_u32_e64 s1, 0x7f800000, v1
	s_and_saveexec_b32 s17, s1
	s_delay_alu instid0(SALU_CYCLE_1)
	s_xor_b32 s1, exec_lo, s17
; %bb.493:
	v_bfe_u32 v1, v0, 16, 1
	s_delay_alu instid0(VALU_DEP_1)
	v_add3_u32 v64, v0, v1, 0x7fff
                                        ; implicit-def: $vgpr0
; %bb.494:
	s_and_not1_saveexec_b32 s17, s1
; %bb.495:
	v_and_b32_e32 v1, 0xffff, v0
	v_or_b32_e32 v2, 0x10000, v0
	s_delay_alu instid0(VALU_DEP_2) | instskip(NEXT) | instid1(VALU_DEP_1)
	v_cmp_eq_u32_e64 s1, 0, v1
	v_cndmask_b32_e64 v64, v2, v0, s1
; %bb.496:
	s_or_b32 exec_lo, exec_lo, s17
	v_sub_f32_e32 v0, v187, v188
                                        ; implicit-def: $vgpr65
	s_delay_alu instid0(VALU_DEP_1) | instskip(NEXT) | instid1(VALU_DEP_1)
	v_mul_f32_e32 v0, s21, v0
	v_and_b32_e32 v1, 0x7f800000, v0
	s_delay_alu instid0(VALU_DEP_1) | instskip(NEXT) | instid1(VALU_DEP_1)
	v_cmp_ne_u32_e64 s1, 0x7f800000, v1
	s_and_saveexec_b32 s17, s1
	s_delay_alu instid0(SALU_CYCLE_1)
	s_xor_b32 s1, exec_lo, s17
; %bb.497:
	v_bfe_u32 v1, v0, 16, 1
	s_delay_alu instid0(VALU_DEP_1)
	v_add3_u32 v65, v0, v1, 0x7fff
                                        ; implicit-def: $vgpr0
; %bb.498:
	s_and_not1_saveexec_b32 s17, s1
; %bb.499:
	v_and_b32_e32 v1, 0xffff, v0
	v_or_b32_e32 v2, 0x10000, v0
	s_delay_alu instid0(VALU_DEP_2) | instskip(NEXT) | instid1(VALU_DEP_1)
	v_cmp_eq_u32_e64 s1, 0, v1
	v_cndmask_b32_e64 v65, v2, v0, s1
; %bb.500:
	s_or_b32 exec_lo, exec_lo, s17
	v_sub_f32_e32 v0, v189, v190
	s_delay_alu instid0(VALU_DEP_1) | instskip(NEXT) | instid1(VALU_DEP_1)
	v_mul_f32_e32 v1, s21, v0
	v_and_b32_e32 v0, 0x7f800000, v1
	s_delay_alu instid0(VALU_DEP_1) | instskip(NEXT) | instid1(VALU_DEP_1)
	v_cmp_ne_u32_e64 s1, 0x7f800000, v0
                                        ; implicit-def: $vgpr0
	s_and_saveexec_b32 s17, s1
	s_delay_alu instid0(SALU_CYCLE_1)
	s_xor_b32 s1, exec_lo, s17
; %bb.501:
	v_bfe_u32 v0, v1, 16, 1
	s_delay_alu instid0(VALU_DEP_1)
	v_add3_u32 v0, v1, v0, 0x7fff
                                        ; implicit-def: $vgpr1
; %bb.502:
	s_and_not1_saveexec_b32 s17, s1
; %bb.503:
	v_and_b32_e32 v0, 0xffff, v1
	v_or_b32_e32 v2, 0x10000, v1
	s_delay_alu instid0(VALU_DEP_2) | instskip(NEXT) | instid1(VALU_DEP_1)
	v_cmp_eq_u32_e64 s1, 0, v0
	v_cndmask_b32_e64 v0, v2, v1, s1
; %bb.504:
	s_or_b32 exec_lo, exec_lo, s17
	v_sub_f32_e32 v1, v191, v192
	s_delay_alu instid0(VALU_DEP_1) | instskip(NEXT) | instid1(VALU_DEP_1)
	v_mul_f32_e32 v2, s21, v1
	v_and_b32_e32 v1, 0x7f800000, v2
	s_delay_alu instid0(VALU_DEP_1) | instskip(NEXT) | instid1(VALU_DEP_1)
	v_cmp_ne_u32_e64 s1, 0x7f800000, v1
                                        ; implicit-def: $vgpr1
	s_and_saveexec_b32 s17, s1
	s_delay_alu instid0(SALU_CYCLE_1)
	s_xor_b32 s1, exec_lo, s17
; %bb.505:
	v_bfe_u32 v1, v2, 16, 1
	s_delay_alu instid0(VALU_DEP_1)
	v_add3_u32 v1, v2, v1, 0x7fff
                                        ; implicit-def: $vgpr2
; %bb.506:
	s_and_not1_saveexec_b32 s17, s1
; %bb.507:
	v_and_b32_e32 v1, 0xffff, v2
	v_or_b32_e32 v3, 0x10000, v2
	s_delay_alu instid0(VALU_DEP_2) | instskip(NEXT) | instid1(VALU_DEP_1)
	v_cmp_eq_u32_e64 s1, 0, v1
	v_cndmask_b32_e64 v1, v3, v2, s1
; %bb.508:
	s_or_b32 exec_lo, exec_lo, s17
	v_sub_f32_e32 v2, v193, v194
	s_delay_alu instid0(VALU_DEP_1) | instskip(NEXT) | instid1(VALU_DEP_1)
	v_mul_f32_e32 v3, s21, v2
	v_and_b32_e32 v2, 0x7f800000, v3
	s_delay_alu instid0(VALU_DEP_1) | instskip(NEXT) | instid1(VALU_DEP_1)
	v_cmp_ne_u32_e64 s1, 0x7f800000, v2
                                        ; implicit-def: $vgpr2
	s_and_saveexec_b32 s17, s1
	s_delay_alu instid0(SALU_CYCLE_1)
	s_xor_b32 s1, exec_lo, s17
; %bb.509:
	v_bfe_u32 v2, v3, 16, 1
	s_delay_alu instid0(VALU_DEP_1)
	v_add3_u32 v2, v3, v2, 0x7fff
                                        ; implicit-def: $vgpr3
; %bb.510:
	s_and_not1_saveexec_b32 s17, s1
; %bb.511:
	v_and_b32_e32 v2, 0xffff, v3
	v_or_b32_e32 v4, 0x10000, v3
	s_delay_alu instid0(VALU_DEP_2) | instskip(NEXT) | instid1(VALU_DEP_1)
	v_cmp_eq_u32_e64 s1, 0, v2
	v_cndmask_b32_e64 v2, v4, v3, s1
; %bb.512:
	s_or_b32 exec_lo, exec_lo, s17
	v_sub_f32_e32 v3, v195, v196
	s_delay_alu instid0(VALU_DEP_1) | instskip(NEXT) | instid1(VALU_DEP_1)
	v_mul_f32_e32 v4, s21, v3
	v_and_b32_e32 v3, 0x7f800000, v4
	s_delay_alu instid0(VALU_DEP_1) | instskip(NEXT) | instid1(VALU_DEP_1)
	v_cmp_ne_u32_e64 s1, 0x7f800000, v3
                                        ; implicit-def: $vgpr3
	s_and_saveexec_b32 s17, s1
	s_delay_alu instid0(SALU_CYCLE_1)
	s_xor_b32 s1, exec_lo, s17
; %bb.513:
	v_bfe_u32 v3, v4, 16, 1
	s_delay_alu instid0(VALU_DEP_1)
	v_add3_u32 v3, v4, v3, 0x7fff
                                        ; implicit-def: $vgpr4
; %bb.514:
	s_and_not1_saveexec_b32 s17, s1
; %bb.515:
	v_and_b32_e32 v3, 0xffff, v4
	v_or_b32_e32 v5, 0x10000, v4
	s_delay_alu instid0(VALU_DEP_2) | instskip(NEXT) | instid1(VALU_DEP_1)
	v_cmp_eq_u32_e64 s1, 0, v3
	v_cndmask_b32_e64 v3, v5, v4, s1
; %bb.516:
	s_or_b32 exec_lo, exec_lo, s17
	v_sub_f32_e32 v4, v197, v198
	s_delay_alu instid0(VALU_DEP_1) | instskip(NEXT) | instid1(VALU_DEP_1)
	v_mul_f32_e32 v5, s21, v4
	v_and_b32_e32 v4, 0x7f800000, v5
	s_delay_alu instid0(VALU_DEP_1) | instskip(NEXT) | instid1(VALU_DEP_1)
	v_cmp_ne_u32_e64 s1, 0x7f800000, v4
                                        ; implicit-def: $vgpr4
	s_and_saveexec_b32 s17, s1
	s_delay_alu instid0(SALU_CYCLE_1)
	s_xor_b32 s1, exec_lo, s17
; %bb.517:
	v_bfe_u32 v4, v5, 16, 1
	s_delay_alu instid0(VALU_DEP_1)
	v_add3_u32 v4, v5, v4, 0x7fff
                                        ; implicit-def: $vgpr5
; %bb.518:
	s_and_not1_saveexec_b32 s17, s1
; %bb.519:
	v_and_b32_e32 v4, 0xffff, v5
	v_or_b32_e32 v6, 0x10000, v5
	s_delay_alu instid0(VALU_DEP_2) | instskip(NEXT) | instid1(VALU_DEP_1)
	v_cmp_eq_u32_e64 s1, 0, v4
	v_cndmask_b32_e64 v4, v6, v5, s1
; %bb.520:
	s_or_b32 exec_lo, exec_lo, s17
	v_sub_f32_e32 v5, v199, v200
	s_delay_alu instid0(VALU_DEP_1) | instskip(NEXT) | instid1(VALU_DEP_1)
	v_mul_f32_e32 v6, s21, v5
	v_and_b32_e32 v5, 0x7f800000, v6
	s_delay_alu instid0(VALU_DEP_1) | instskip(NEXT) | instid1(VALU_DEP_1)
	v_cmp_ne_u32_e64 s1, 0x7f800000, v5
                                        ; implicit-def: $vgpr5
	s_and_saveexec_b32 s17, s1
	s_delay_alu instid0(SALU_CYCLE_1)
	s_xor_b32 s1, exec_lo, s17
; %bb.521:
	v_bfe_u32 v5, v6, 16, 1
	s_delay_alu instid0(VALU_DEP_1)
	v_add3_u32 v5, v6, v5, 0x7fff
                                        ; implicit-def: $vgpr6
; %bb.522:
	s_and_not1_saveexec_b32 s17, s1
; %bb.523:
	v_and_b32_e32 v5, 0xffff, v6
	v_or_b32_e32 v7, 0x10000, v6
	s_delay_alu instid0(VALU_DEP_2) | instskip(NEXT) | instid1(VALU_DEP_1)
	v_cmp_eq_u32_e64 s1, 0, v5
	v_cndmask_b32_e64 v5, v7, v6, s1
; %bb.524:
	s_or_b32 exec_lo, exec_lo, s17
	v_sub_f32_e32 v6, v201, v202
	s_delay_alu instid0(VALU_DEP_1) | instskip(NEXT) | instid1(VALU_DEP_1)
	v_mul_f32_e32 v7, s21, v6
	v_and_b32_e32 v6, 0x7f800000, v7
	s_delay_alu instid0(VALU_DEP_1) | instskip(NEXT) | instid1(VALU_DEP_1)
	v_cmp_ne_u32_e64 s1, 0x7f800000, v6
                                        ; implicit-def: $vgpr6
	s_and_saveexec_b32 s17, s1
	s_delay_alu instid0(SALU_CYCLE_1)
	s_xor_b32 s1, exec_lo, s17
; %bb.525:
	v_bfe_u32 v6, v7, 16, 1
	s_delay_alu instid0(VALU_DEP_1)
	v_add3_u32 v6, v7, v6, 0x7fff
                                        ; implicit-def: $vgpr7
; %bb.526:
	s_and_not1_saveexec_b32 s17, s1
; %bb.527:
	v_and_b32_e32 v6, 0xffff, v7
	v_or_b32_e32 v8, 0x10000, v7
	s_delay_alu instid0(VALU_DEP_2) | instskip(NEXT) | instid1(VALU_DEP_1)
	v_cmp_eq_u32_e64 s1, 0, v6
	v_cndmask_b32_e64 v6, v8, v7, s1
; %bb.528:
	s_or_b32 exec_lo, exec_lo, s17
	v_sub_f32_e32 v7, v203, v204
	s_delay_alu instid0(VALU_DEP_1) | instskip(NEXT) | instid1(VALU_DEP_1)
	v_mul_f32_e32 v8, s21, v7
	v_and_b32_e32 v7, 0x7f800000, v8
	s_delay_alu instid0(VALU_DEP_1) | instskip(NEXT) | instid1(VALU_DEP_1)
	v_cmp_ne_u32_e64 s1, 0x7f800000, v7
                                        ; implicit-def: $vgpr7
	s_and_saveexec_b32 s17, s1
	s_delay_alu instid0(SALU_CYCLE_1)
	s_xor_b32 s1, exec_lo, s17
; %bb.529:
	v_bfe_u32 v7, v8, 16, 1
	s_delay_alu instid0(VALU_DEP_1)
	v_add3_u32 v7, v8, v7, 0x7fff
                                        ; implicit-def: $vgpr8
; %bb.530:
	s_and_not1_saveexec_b32 s17, s1
; %bb.531:
	v_and_b32_e32 v7, 0xffff, v8
	v_or_b32_e32 v9, 0x10000, v8
	s_delay_alu instid0(VALU_DEP_2) | instskip(NEXT) | instid1(VALU_DEP_1)
	v_cmp_eq_u32_e64 s1, 0, v7
	v_cndmask_b32_e64 v7, v9, v8, s1
; %bb.532:
	s_or_b32 exec_lo, exec_lo, s17
	v_sub_f32_e32 v8, v205, v206
	s_delay_alu instid0(VALU_DEP_1) | instskip(NEXT) | instid1(VALU_DEP_1)
	v_mul_f32_e32 v9, s21, v8
	v_and_b32_e32 v8, 0x7f800000, v9
	s_delay_alu instid0(VALU_DEP_1) | instskip(NEXT) | instid1(VALU_DEP_1)
	v_cmp_ne_u32_e64 s1, 0x7f800000, v8
                                        ; implicit-def: $vgpr8
	s_and_saveexec_b32 s17, s1
	s_delay_alu instid0(SALU_CYCLE_1)
	s_xor_b32 s1, exec_lo, s17
; %bb.533:
	v_bfe_u32 v8, v9, 16, 1
	s_delay_alu instid0(VALU_DEP_1)
	v_add3_u32 v8, v9, v8, 0x7fff
                                        ; implicit-def: $vgpr9
; %bb.534:
	s_and_not1_saveexec_b32 s17, s1
; %bb.535:
	v_and_b32_e32 v8, 0xffff, v9
	v_or_b32_e32 v66, 0x10000, v9
	s_delay_alu instid0(VALU_DEP_2) | instskip(NEXT) | instid1(VALU_DEP_1)
	v_cmp_eq_u32_e64 s1, 0, v8
	v_cndmask_b32_e64 v8, v66, v9, s1
; %bb.536:
	s_or_b32 exec_lo, exec_lo, s17
	v_sub_f32_e32 v9, v207, v208
	s_delay_alu instid0(VALU_DEP_1) | instskip(NEXT) | instid1(VALU_DEP_1)
	v_mul_f32_e32 v66, s21, v9
	v_and_b32_e32 v9, 0x7f800000, v66
	s_delay_alu instid0(VALU_DEP_1) | instskip(NEXT) | instid1(VALU_DEP_1)
	v_cmp_ne_u32_e64 s1, 0x7f800000, v9
                                        ; implicit-def: $vgpr9
	s_and_saveexec_b32 s17, s1
	s_delay_alu instid0(SALU_CYCLE_1)
	s_xor_b32 s1, exec_lo, s17
; %bb.537:
	v_bfe_u32 v9, v66, 16, 1
	s_delay_alu instid0(VALU_DEP_1)
	v_add3_u32 v9, v66, v9, 0x7fff
                                        ; implicit-def: $vgpr66
; %bb.538:
	s_and_not1_saveexec_b32 s17, s1
; %bb.539:
	v_and_b32_e32 v9, 0xffff, v66
	v_or_b32_e32 v67, 0x10000, v66
	s_delay_alu instid0(VALU_DEP_2) | instskip(NEXT) | instid1(VALU_DEP_1)
	v_cmp_eq_u32_e64 s1, 0, v9
	v_cndmask_b32_e64 v9, v67, v66, s1
; %bb.540:
	s_or_b32 exec_lo, exec_lo, s17
	v_sub_f32_e32 v66, v209, v210
	s_delay_alu instid0(VALU_DEP_1) | instskip(NEXT) | instid1(VALU_DEP_1)
	v_mul_f32_e32 v67, s21, v66
	v_and_b32_e32 v66, 0x7f800000, v67
	s_delay_alu instid0(VALU_DEP_1) | instskip(NEXT) | instid1(VALU_DEP_1)
	v_cmp_ne_u32_e64 s1, 0x7f800000, v66
                                        ; implicit-def: $vgpr66
	s_and_saveexec_b32 s17, s1
	s_delay_alu instid0(SALU_CYCLE_1)
	s_xor_b32 s1, exec_lo, s17
; %bb.541:
	v_bfe_u32 v66, v67, 16, 1
	s_delay_alu instid0(VALU_DEP_1)
	v_add3_u32 v66, v67, v66, 0x7fff
                                        ; implicit-def: $vgpr67
; %bb.542:
	s_and_not1_saveexec_b32 s17, s1
; %bb.543:
	v_and_b32_e32 v66, 0xffff, v67
	v_or_b32_e32 v101, 0x10000, v67
	s_delay_alu instid0(VALU_DEP_2) | instskip(NEXT) | instid1(VALU_DEP_1)
	v_cmp_eq_u32_e64 s1, 0, v66
	v_cndmask_b32_e64 v66, v101, v67, s1
; %bb.544:
	s_or_b32 exec_lo, exec_lo, s17
	s_mul_i32 s1, s22, s28
	s_mul_hi_u32 s17, s22, s15
	s_mul_i32 s18, s23, s15
	s_add_i32 s1, s17, s1
	s_delay_alu instid0(SALU_CYCLE_1) | instskip(SKIP_1) | instid1(SALU_CYCLE_1)
	s_add_i32 s19, s1, s18
	s_mul_i32 s18, s22, s15
	s_lshl_b64 s[18:19], s[18:19], 1
	s_delay_alu instid0(SALU_CYCLE_1)
	s_add_u32 s18, s26, s18
	s_addc_u32 s19, s27, s19
	s_and_saveexec_b32 s1, vcc_lo
	s_cbranch_execnz .LBB38_561
; %bb.545:
	s_or_b32 exec_lo, exec_lo, s1
	s_and_saveexec_b32 s1, s2
	s_cbranch_execnz .LBB38_562
.LBB38_546:
	s_or_b32 exec_lo, exec_lo, s1
	s_and_saveexec_b32 s1, s3
	s_cbranch_execnz .LBB38_563
.LBB38_547:
	s_or_b32 exec_lo, exec_lo, s1
	s_and_saveexec_b32 s1, s4
	s_cbranch_execnz .LBB38_564
.LBB38_548:
	s_or_b32 exec_lo, exec_lo, s1
	s_and_saveexec_b32 s1, s5
	s_cbranch_execnz .LBB38_565
.LBB38_549:
	s_or_b32 exec_lo, exec_lo, s1
	s_and_saveexec_b32 s1, s6
	s_cbranch_execnz .LBB38_566
.LBB38_550:
	s_or_b32 exec_lo, exec_lo, s1
	s_and_saveexec_b32 s1, s7
	s_cbranch_execnz .LBB38_567
.LBB38_551:
	s_or_b32 exec_lo, exec_lo, s1
	s_and_saveexec_b32 s1, s8
	s_cbranch_execnz .LBB38_568
.LBB38_552:
	s_or_b32 exec_lo, exec_lo, s1
	s_and_saveexec_b32 s1, s9
	s_cbranch_execnz .LBB38_569
.LBB38_553:
	s_or_b32 exec_lo, exec_lo, s1
	s_and_saveexec_b32 s1, s10
	s_cbranch_execnz .LBB38_570
.LBB38_554:
	s_or_b32 exec_lo, exec_lo, s1
	s_and_saveexec_b32 s1, s11
	s_cbranch_execnz .LBB38_571
.LBB38_555:
	s_or_b32 exec_lo, exec_lo, s1
	s_and_saveexec_b32 s1, s12
	s_cbranch_execnz .LBB38_572
.LBB38_556:
	s_or_b32 exec_lo, exec_lo, s1
	s_and_saveexec_b32 s1, s13
	s_cbranch_execnz .LBB38_573
.LBB38_557:
	s_or_b32 exec_lo, exec_lo, s1
	s_and_saveexec_b32 s1, s14
	s_cbranch_execnz .LBB38_574
.LBB38_558:
	s_or_b32 exec_lo, exec_lo, s1
	s_and_saveexec_b32 s1, s16
	s_cbranch_execnz .LBB38_575
.LBB38_559:
	s_or_b32 exec_lo, exec_lo, s1
	s_and_saveexec_b32 s1, s0
	s_cbranch_execnz .LBB38_576
.LBB38_560:
	s_endpgm
.LBB38_561:
	s_clause 0x1
	scratch_load_b32 v67, off, off offset:100
	scratch_load_b32 v101, off, off offset:104
	s_waitcnt vmcnt(0)
	v_perm_b32 v106, v101, v67, 0x7060302
	s_clause 0x1
	scratch_load_b32 v67, off, off offset:92
	scratch_load_b32 v101, off, off offset:96
	s_waitcnt vmcnt(0)
	v_perm_b32 v105, v101, v67, 0x7060302
	;; [unrolled: 5-line block ×4, first 2 shown]
	scratch_load_b32 v67, off, off offset:8 ; 4-byte Folded Reload
	s_waitcnt vmcnt(0)
	global_store_b128 v67, v[103:106], s[18:19]
	s_or_b32 exec_lo, exec_lo, s1
	s_and_saveexec_b32 s1, s2
	s_cbranch_execz .LBB38_546
.LBB38_562:
	s_clause 0x1
	scratch_load_b32 v67, off, off offset:132
	scratch_load_b32 v101, off, off offset:136
	s_waitcnt vmcnt(0)
	v_perm_b32 v106, v101, v67, 0x7060302
	s_clause 0x1
	scratch_load_b32 v67, off, off offset:124
	scratch_load_b32 v101, off, off offset:128
	s_waitcnt vmcnt(0)
	v_perm_b32 v105, v101, v67, 0x7060302
	;; [unrolled: 5-line block ×4, first 2 shown]
	scratch_load_b32 v67, off, off offset:12 ; 4-byte Folded Reload
	s_waitcnt vmcnt(0)
	global_store_b128 v67, v[103:106], s[18:19]
	s_or_b32 exec_lo, exec_lo, s1
	s_and_saveexec_b32 s1, s3
	s_cbranch_execz .LBB38_547
.LBB38_563:
	v_perm_b32 v106, v11, v10, 0x7060302
	s_clause 0x1
	scratch_load_b32 v10, off, off offset:156
	scratch_load_b32 v11, off, off offset:160
	s_waitcnt vmcnt(0)
	v_perm_b32 v105, v11, v10, 0x7060302
	s_clause 0x1
	scratch_load_b32 v10, off, off offset:148
	scratch_load_b32 v11, off, off offset:152
	s_waitcnt vmcnt(0)
	;; [unrolled: 5-line block ×3, first 2 shown]
	v_perm_b32 v103, v11, v10, 0x7060302
	scratch_load_b32 v10, off, off offset:16 ; 4-byte Folded Reload
	s_waitcnt vmcnt(0)
	global_store_b128 v10, v[103:106], s[18:19]
	s_or_b32 exec_lo, exec_lo, s1
	s_and_saveexec_b32 s1, s4
	s_cbranch_execz .LBB38_548
.LBB38_564:
	scratch_load_b32 v10, off, off offset:20 ; 4-byte Folded Reload
	v_perm_b32 v18, v19, v18, 0x7060302
	v_perm_b32 v17, v17, v16, 0x7060302
	;; [unrolled: 1-line block ×4, first 2 shown]
	s_waitcnt vmcnt(0)
	global_store_b128 v10, v[15:18], s[18:19]
	s_or_b32 exec_lo, exec_lo, s1
	s_and_saveexec_b32 s1, s5
	s_cbranch_execz .LBB38_549
.LBB38_565:
	scratch_load_b32 v14, off, off offset:24 ; 4-byte Folded Reload
	v_perm_b32 v13, v27, v26, 0x7060302
	v_perm_b32 v12, v25, v24, 0x7060302
	;; [unrolled: 1-line block ×4, first 2 shown]
	s_waitcnt vmcnt(0)
	global_store_b128 v14, v[10:13], s[18:19]
	s_or_b32 exec_lo, exec_lo, s1
	s_and_saveexec_b32 s1, s6
	s_cbranch_execz .LBB38_550
.LBB38_566:
	scratch_load_b32 v14, off, off offset:28 ; 4-byte Folded Reload
	v_perm_b32 v13, v35, v34, 0x7060302
	v_perm_b32 v12, v33, v32, 0x7060302
	;; [unrolled: 1-line block ×4, first 2 shown]
	s_waitcnt vmcnt(0)
	global_store_b128 v14, v[10:13], s[18:19]
	s_or_b32 exec_lo, exec_lo, s1
	s_and_saveexec_b32 s1, s7
	s_cbranch_execz .LBB38_551
.LBB38_567:
	scratch_load_b32 v14, off, off offset:32 ; 4-byte Folded Reload
	v_perm_b32 v13, v43, v42, 0x7060302
	v_perm_b32 v12, v41, v40, 0x7060302
	;; [unrolled: 1-line block ×4, first 2 shown]
	s_waitcnt vmcnt(0)
	global_store_b128 v14, v[10:13], s[18:19]
	s_or_b32 exec_lo, exec_lo, s1
	s_and_saveexec_b32 s1, s8
	s_cbranch_execz .LBB38_552
.LBB38_568:
	scratch_load_b32 v14, off, off offset:36 ; 4-byte Folded Reload
	v_perm_b32 v13, v51, v50, 0x7060302
	v_perm_b32 v12, v49, v48, 0x7060302
	;; [unrolled: 1-line block ×4, first 2 shown]
	s_waitcnt vmcnt(0)
	global_store_b128 v14, v[10:13], s[18:19]
	s_or_b32 exec_lo, exec_lo, s1
	s_and_saveexec_b32 s1, s9
	s_cbranch_execz .LBB38_553
.LBB38_569:
	scratch_load_b32 v14, off, off offset:40 ; 4-byte Folded Reload
	v_perm_b32 v13, v156, v155, 0x7060302
	v_perm_b32 v12, v154, v153, 0x7060302
	;; [unrolled: 1-line block ×4, first 2 shown]
	s_waitcnt vmcnt(0)
	global_store_b128 v14, v[10:13], s[18:19]
	s_or_b32 exec_lo, exec_lo, s1
	s_and_saveexec_b32 s1, s10
	s_cbranch_execz .LBB38_554
.LBB38_570:
	scratch_load_b32 v14, off, off offset:44 ; 4-byte Folded Reload
	v_perm_b32 v13, v55, v54, 0x7060302
	v_perm_b32 v12, v53, v52, 0x7060302
	;; [unrolled: 1-line block ×4, first 2 shown]
	s_waitcnt vmcnt(0)
	global_store_b128 v14, v[10:13], s[18:19]
	s_or_b32 exec_lo, exec_lo, s1
	s_and_saveexec_b32 s1, s11
	s_cbranch_execz .LBB38_555
.LBB38_571:
	scratch_load_b32 v14, off, off offset:48 ; 4-byte Folded Reload
	v_perm_b32 v13, v63, v62, 0x7060302
	v_perm_b32 v12, v61, v60, 0x7060302
	;; [unrolled: 1-line block ×4, first 2 shown]
	s_waitcnt vmcnt(0)
	global_store_b128 v14, v[10:13], s[18:19]
	s_or_b32 exec_lo, exec_lo, s1
	s_and_saveexec_b32 s1, s12
	s_cbranch_execz .LBB38_556
.LBB38_572:
	scratch_load_b32 v14, off, off offset:52 ; 4-byte Folded Reload
	v_perm_b32 v13, v80, v79, 0x7060302
	v_perm_b32 v12, v78, v77, 0x7060302
	;; [unrolled: 1-line block ×4, first 2 shown]
	s_waitcnt vmcnt(0)
	global_store_b128 v14, v[10:13], s[18:19]
	s_or_b32 exec_lo, exec_lo, s1
	s_and_saveexec_b32 s1, s13
	s_cbranch_execz .LBB38_557
.LBB38_573:
	scratch_load_b32 v14, off, off offset:56 ; 4-byte Folded Reload
	v_perm_b32 v13, v88, v87, 0x7060302
	v_perm_b32 v12, v86, v85, 0x7060302
	;; [unrolled: 1-line block ×4, first 2 shown]
	s_waitcnt vmcnt(0)
	global_store_b128 v14, v[10:13], s[18:19]
	s_or_b32 exec_lo, exec_lo, s1
	s_and_saveexec_b32 s1, s14
	s_cbranch_execz .LBB38_558
.LBB38_574:
	scratch_load_b64 v[10:11], off, off offset:60 ; 8-byte Folded Reload
	s_waitcnt vmcnt(0)
	v_mov_b32_e32 v11, 0
	v_perm_b32 v13, v97, v96, 0x7060302
	v_perm_b32 v12, v95, v94, 0x7060302
	s_delay_alu instid0(VALU_DEP_3) | instskip(SKIP_2) | instid1(VALU_DEP_3)
	v_lshlrev_b64 v[14:15], 4, v[10:11]
	v_perm_b32 v11, v93, v92, 0x7060302
	v_perm_b32 v10, v91, v90, 0x7060302
	v_add_co_u32 v14, vcc_lo, s18, v14
	s_delay_alu instid0(VALU_DEP_4)
	v_add_co_ci_u32_e32 v15, vcc_lo, s19, v15, vcc_lo
	global_store_b128 v[14:15], v[10:13], off
	s_or_b32 exec_lo, exec_lo, s1
	s_and_saveexec_b32 s1, s16
	s_cbranch_execz .LBB38_559
.LBB38_575:
	scratch_load_b64 v[10:11], off, off offset:68 ; 8-byte Folded Reload
	s_waitcnt vmcnt(0)
	v_mov_b32_e32 v11, 0
	v_perm_b32 v12, v0, v65, 0x7060302
	v_perm_b32 v13, v2, v1, 0x7060302
	s_delay_alu instid0(VALU_DEP_3) | instskip(SKIP_2) | instid1(VALU_DEP_3)
	v_lshlrev_b64 v[14:15], 4, v[10:11]
	v_perm_b32 v11, v64, v100, 0x7060302
	v_perm_b32 v10, v99, v98, 0x7060302
	v_add_co_u32 v0, vcc_lo, s18, v14
	s_delay_alu instid0(VALU_DEP_4)
	v_add_co_ci_u32_e32 v1, vcc_lo, s19, v15, vcc_lo
	global_store_b128 v[0:1], v[10:13], off
	s_or_b32 exec_lo, exec_lo, s1
	s_and_saveexec_b32 s1, s0
	s_cbranch_execz .LBB38_560
.LBB38_576:
	scratch_load_b64 v[0:1], off, off       ; 8-byte Folded Reload
	s_waitcnt vmcnt(0)
	v_mov_b32_e32 v1, 0
	v_perm_b32 v9, v66, v9, 0x7060302
	v_perm_b32 v8, v8, v7, 0x7060302
	;; [unrolled: 1-line block ×4, first 2 shown]
	v_lshlrev_b64 v[0:1], 4, v[0:1]
	s_delay_alu instid0(VALU_DEP_1) | instskip(NEXT) | instid1(VALU_DEP_2)
	v_add_co_u32 v0, vcc_lo, s18, v0
	v_add_co_ci_u32_e32 v1, vcc_lo, s19, v1, vcc_lo
	global_store_b128 v[0:1], v[6:9], off
	s_endpgm
	.section	.rodata,"a",@progbits
	.p2align	6, 0x0
	.amdhsa_kernel _Z30fast_hadamard_transform_kernelI37fast_hadamard_transform_kernel_traitsILi256ELi15E14__hip_bfloat16EEv18HadamardParamsBase
		.amdhsa_group_segment_fixed_size 0
		.amdhsa_private_segment_fixed_size 168
		.amdhsa_kernarg_size 312
		.amdhsa_user_sgpr_count 15
		.amdhsa_user_sgpr_dispatch_ptr 0
		.amdhsa_user_sgpr_queue_ptr 0
		.amdhsa_user_sgpr_kernarg_segment_ptr 1
		.amdhsa_user_sgpr_dispatch_id 0
		.amdhsa_user_sgpr_private_segment_size 0
		.amdhsa_wavefront_size32 1
		.amdhsa_uses_dynamic_stack 0
		.amdhsa_enable_private_segment 1
		.amdhsa_system_sgpr_workgroup_id_x 1
		.amdhsa_system_sgpr_workgroup_id_y 0
		.amdhsa_system_sgpr_workgroup_id_z 0
		.amdhsa_system_sgpr_workgroup_info 0
		.amdhsa_system_vgpr_workitem_id 0
		.amdhsa_next_free_vgpr 256
		.amdhsa_next_free_sgpr 30
		.amdhsa_reserve_vcc 1
		.amdhsa_float_round_mode_32 0
		.amdhsa_float_round_mode_16_64 0
		.amdhsa_float_denorm_mode_32 3
		.amdhsa_float_denorm_mode_16_64 3
		.amdhsa_dx10_clamp 1
		.amdhsa_ieee_mode 1
		.amdhsa_fp16_overflow 0
		.amdhsa_workgroup_processor_mode 1
		.amdhsa_memory_ordered 1
		.amdhsa_forward_progress 0
		.amdhsa_shared_vgpr_count 0
		.amdhsa_exception_fp_ieee_invalid_op 0
		.amdhsa_exception_fp_denorm_src 0
		.amdhsa_exception_fp_ieee_div_zero 0
		.amdhsa_exception_fp_ieee_overflow 0
		.amdhsa_exception_fp_ieee_underflow 0
		.amdhsa_exception_fp_ieee_inexact 0
		.amdhsa_exception_int_div_zero 0
	.end_amdhsa_kernel
	.section	.text._Z30fast_hadamard_transform_kernelI37fast_hadamard_transform_kernel_traitsILi256ELi15E14__hip_bfloat16EEv18HadamardParamsBase,"axG",@progbits,_Z30fast_hadamard_transform_kernelI37fast_hadamard_transform_kernel_traitsILi256ELi15E14__hip_bfloat16EEv18HadamardParamsBase,comdat
.Lfunc_end38:
	.size	_Z30fast_hadamard_transform_kernelI37fast_hadamard_transform_kernel_traitsILi256ELi15E14__hip_bfloat16EEv18HadamardParamsBase, .Lfunc_end38-_Z30fast_hadamard_transform_kernelI37fast_hadamard_transform_kernel_traitsILi256ELi15E14__hip_bfloat16EEv18HadamardParamsBase
                                        ; -- End function
	.section	.AMDGPU.csdata,"",@progbits
; Kernel info:
; codeLenInByte = 47164
; NumSgprs: 32
; NumVgprs: 256
; ScratchSize: 168
; MemoryBound: 0
; FloatMode: 240
; IeeeMode: 1
; LDSByteSize: 0 bytes/workgroup (compile time only)
; SGPRBlocks: 3
; VGPRBlocks: 31
; NumSGPRsForWavesPerEU: 32
; NumVGPRsForWavesPerEU: 256
; Occupancy: 5
; WaveLimiterHint : 0
; COMPUTE_PGM_RSRC2:SCRATCH_EN: 1
; COMPUTE_PGM_RSRC2:USER_SGPR: 15
; COMPUTE_PGM_RSRC2:TRAP_HANDLER: 0
; COMPUTE_PGM_RSRC2:TGID_X_EN: 1
; COMPUTE_PGM_RSRC2:TGID_Y_EN: 0
; COMPUTE_PGM_RSRC2:TGID_Z_EN: 0
; COMPUTE_PGM_RSRC2:TIDIG_COMP_CNT: 0
	.text
	.p2alignl 7, 3214868480
	.fill 96, 4, 3214868480
	.type	__hip_cuid_c6ee84a2ac2dd251,@object ; @__hip_cuid_c6ee84a2ac2dd251
	.section	.bss,"aw",@nobits
	.globl	__hip_cuid_c6ee84a2ac2dd251
__hip_cuid_c6ee84a2ac2dd251:
	.byte	0                               ; 0x0
	.size	__hip_cuid_c6ee84a2ac2dd251, 1

	.ident	"AMD clang version 19.0.0git (https://github.com/RadeonOpenCompute/llvm-project roc-6.4.0 25133 c7fe45cf4b819c5991fe208aaa96edf142730f1d)"
	.section	".note.GNU-stack","",@progbits
	.addrsig
	.addrsig_sym __hip_cuid_c6ee84a2ac2dd251
	.amdgpu_metadata
---
amdhsa.kernels:
  - .args:
      - .offset:         0
        .size:           56
        .value_kind:     by_value
      - .offset:         56
        .size:           4
        .value_kind:     hidden_block_count_x
      - .offset:         60
        .size:           4
        .value_kind:     hidden_block_count_y
      - .offset:         64
        .size:           4
        .value_kind:     hidden_block_count_z
      - .offset:         68
        .size:           2
        .value_kind:     hidden_group_size_x
      - .offset:         70
        .size:           2
        .value_kind:     hidden_group_size_y
      - .offset:         72
        .size:           2
        .value_kind:     hidden_group_size_z
      - .offset:         74
        .size:           2
        .value_kind:     hidden_remainder_x
      - .offset:         76
        .size:           2
        .value_kind:     hidden_remainder_y
      - .offset:         78
        .size:           2
        .value_kind:     hidden_remainder_z
      - .offset:         96
        .size:           8
        .value_kind:     hidden_global_offset_x
      - .offset:         104
        .size:           8
        .value_kind:     hidden_global_offset_y
      - .offset:         112
        .size:           8
        .value_kind:     hidden_global_offset_z
      - .offset:         120
        .size:           2
        .value_kind:     hidden_grid_dims
    .group_segment_fixed_size: 0
    .kernarg_segment_align: 8
    .kernarg_segment_size: 312
    .language:       OpenCL C
    .language_version:
      - 2
      - 0
    .max_flat_workgroup_size: 1
    .name:           _Z30fast_hadamard_transform_kernelI37fast_hadamard_transform_kernel_traitsILi1ELi3EfEEv18HadamardParamsBase
    .private_segment_fixed_size: 0
    .sgpr_count:     26
    .sgpr_spill_count: 0
    .symbol:         _Z30fast_hadamard_transform_kernelI37fast_hadamard_transform_kernel_traitsILi1ELi3EfEEv18HadamardParamsBase.kd
    .uniform_work_group_size: 1
    .uses_dynamic_stack: false
    .vgpr_count:     14
    .vgpr_spill_count: 0
    .wavefront_size: 32
    .workgroup_processor_mode: 1
  - .args:
      - .offset:         0
        .size:           56
        .value_kind:     by_value
      - .offset:         56
        .size:           4
        .value_kind:     hidden_block_count_x
      - .offset:         60
        .size:           4
        .value_kind:     hidden_block_count_y
      - .offset:         64
        .size:           4
        .value_kind:     hidden_block_count_z
      - .offset:         68
        .size:           2
        .value_kind:     hidden_group_size_x
      - .offset:         70
        .size:           2
        .value_kind:     hidden_group_size_y
      - .offset:         72
        .size:           2
        .value_kind:     hidden_group_size_z
      - .offset:         74
        .size:           2
        .value_kind:     hidden_remainder_x
      - .offset:         76
        .size:           2
        .value_kind:     hidden_remainder_y
      - .offset:         78
        .size:           2
        .value_kind:     hidden_remainder_z
      - .offset:         96
        .size:           8
        .value_kind:     hidden_global_offset_x
      - .offset:         104
        .size:           8
        .value_kind:     hidden_global_offset_y
      - .offset:         112
        .size:           8
        .value_kind:     hidden_global_offset_z
      - .offset:         120
        .size:           2
        .value_kind:     hidden_grid_dims
    .group_segment_fixed_size: 0
    .kernarg_segment_align: 8
    .kernarg_segment_size: 312
    .language:       OpenCL C
    .language_version:
      - 2
      - 0
    .max_flat_workgroup_size: 2
    .name:           _Z30fast_hadamard_transform_kernelI37fast_hadamard_transform_kernel_traitsILi2ELi4EfEEv18HadamardParamsBase
    .private_segment_fixed_size: 0
    .sgpr_count:     18
    .sgpr_spill_count: 0
    .symbol:         _Z30fast_hadamard_transform_kernelI37fast_hadamard_transform_kernel_traitsILi2ELi4EfEEv18HadamardParamsBase.kd
    .uniform_work_group_size: 1
    .uses_dynamic_stack: false
    .vgpr_count:     21
    .vgpr_spill_count: 0
    .wavefront_size: 32
    .workgroup_processor_mode: 1
  - .args:
      - .offset:         0
        .size:           56
        .value_kind:     by_value
      - .offset:         56
        .size:           4
        .value_kind:     hidden_block_count_x
      - .offset:         60
        .size:           4
        .value_kind:     hidden_block_count_y
      - .offset:         64
        .size:           4
        .value_kind:     hidden_block_count_z
      - .offset:         68
        .size:           2
        .value_kind:     hidden_group_size_x
      - .offset:         70
        .size:           2
        .value_kind:     hidden_group_size_y
      - .offset:         72
        .size:           2
        .value_kind:     hidden_group_size_z
      - .offset:         74
        .size:           2
        .value_kind:     hidden_remainder_x
      - .offset:         76
        .size:           2
        .value_kind:     hidden_remainder_y
      - .offset:         78
        .size:           2
        .value_kind:     hidden_remainder_z
      - .offset:         96
        .size:           8
        .value_kind:     hidden_global_offset_x
      - .offset:         104
        .size:           8
        .value_kind:     hidden_global_offset_y
      - .offset:         112
        .size:           8
        .value_kind:     hidden_global_offset_z
      - .offset:         120
        .size:           2
        .value_kind:     hidden_grid_dims
    .group_segment_fixed_size: 0
    .kernarg_segment_align: 8
    .kernarg_segment_size: 312
    .language:       OpenCL C
    .language_version:
      - 2
      - 0
    .max_flat_workgroup_size: 4
    .name:           _Z30fast_hadamard_transform_kernelI37fast_hadamard_transform_kernel_traitsILi4ELi5EfEEv18HadamardParamsBase
    .private_segment_fixed_size: 0
    .sgpr_count:     18
    .sgpr_spill_count: 0
    .symbol:         _Z30fast_hadamard_transform_kernelI37fast_hadamard_transform_kernel_traitsILi4ELi5EfEEv18HadamardParamsBase.kd
    .uniform_work_group_size: 1
    .uses_dynamic_stack: false
    .vgpr_count:     22
    .vgpr_spill_count: 0
    .wavefront_size: 32
    .workgroup_processor_mode: 1
  - .args:
      - .offset:         0
        .size:           56
        .value_kind:     by_value
      - .offset:         56
        .size:           4
        .value_kind:     hidden_block_count_x
      - .offset:         60
        .size:           4
        .value_kind:     hidden_block_count_y
      - .offset:         64
        .size:           4
        .value_kind:     hidden_block_count_z
      - .offset:         68
        .size:           2
        .value_kind:     hidden_group_size_x
      - .offset:         70
        .size:           2
        .value_kind:     hidden_group_size_y
      - .offset:         72
        .size:           2
        .value_kind:     hidden_group_size_z
      - .offset:         74
        .size:           2
        .value_kind:     hidden_remainder_x
      - .offset:         76
        .size:           2
        .value_kind:     hidden_remainder_y
      - .offset:         78
        .size:           2
        .value_kind:     hidden_remainder_z
      - .offset:         96
        .size:           8
        .value_kind:     hidden_global_offset_x
      - .offset:         104
        .size:           8
        .value_kind:     hidden_global_offset_y
      - .offset:         112
        .size:           8
        .value_kind:     hidden_global_offset_z
      - .offset:         120
        .size:           2
        .value_kind:     hidden_grid_dims
    .group_segment_fixed_size: 0
    .kernarg_segment_align: 8
    .kernarg_segment_size: 312
    .language:       OpenCL C
    .language_version:
      - 2
      - 0
    .max_flat_workgroup_size: 8
    .name:           _Z30fast_hadamard_transform_kernelI37fast_hadamard_transform_kernel_traitsILi8ELi6EfEEv18HadamardParamsBase
    .private_segment_fixed_size: 0
    .sgpr_count:     18
    .sgpr_spill_count: 0
    .symbol:         _Z30fast_hadamard_transform_kernelI37fast_hadamard_transform_kernel_traitsILi8ELi6EfEEv18HadamardParamsBase.kd
    .uniform_work_group_size: 1
    .uses_dynamic_stack: false
    .vgpr_count:     23
    .vgpr_spill_count: 0
    .wavefront_size: 32
    .workgroup_processor_mode: 1
  - .args:
      - .offset:         0
        .size:           56
        .value_kind:     by_value
      - .offset:         56
        .size:           4
        .value_kind:     hidden_block_count_x
      - .offset:         60
        .size:           4
        .value_kind:     hidden_block_count_y
      - .offset:         64
        .size:           4
        .value_kind:     hidden_block_count_z
      - .offset:         68
        .size:           2
        .value_kind:     hidden_group_size_x
      - .offset:         70
        .size:           2
        .value_kind:     hidden_group_size_y
      - .offset:         72
        .size:           2
        .value_kind:     hidden_group_size_z
      - .offset:         74
        .size:           2
        .value_kind:     hidden_remainder_x
      - .offset:         76
        .size:           2
        .value_kind:     hidden_remainder_y
      - .offset:         78
        .size:           2
        .value_kind:     hidden_remainder_z
      - .offset:         96
        .size:           8
        .value_kind:     hidden_global_offset_x
      - .offset:         104
        .size:           8
        .value_kind:     hidden_global_offset_y
      - .offset:         112
        .size:           8
        .value_kind:     hidden_global_offset_z
      - .offset:         120
        .size:           2
        .value_kind:     hidden_grid_dims
    .group_segment_fixed_size: 0
    .kernarg_segment_align: 8
    .kernarg_segment_size: 312
    .language:       OpenCL C
    .language_version:
      - 2
      - 0
    .max_flat_workgroup_size: 16
    .name:           _Z30fast_hadamard_transform_kernelI37fast_hadamard_transform_kernel_traitsILi16ELi7EfEEv18HadamardParamsBase
    .private_segment_fixed_size: 0
    .sgpr_count:     18
    .sgpr_spill_count: 0
    .symbol:         _Z30fast_hadamard_transform_kernelI37fast_hadamard_transform_kernel_traitsILi16ELi7EfEEv18HadamardParamsBase.kd
    .uniform_work_group_size: 1
    .uses_dynamic_stack: false
    .vgpr_count:     23
    .vgpr_spill_count: 0
    .wavefront_size: 32
    .workgroup_processor_mode: 1
  - .args:
      - .offset:         0
        .size:           56
        .value_kind:     by_value
      - .offset:         56
        .size:           4
        .value_kind:     hidden_block_count_x
      - .offset:         60
        .size:           4
        .value_kind:     hidden_block_count_y
      - .offset:         64
        .size:           4
        .value_kind:     hidden_block_count_z
      - .offset:         68
        .size:           2
        .value_kind:     hidden_group_size_x
      - .offset:         70
        .size:           2
        .value_kind:     hidden_group_size_y
      - .offset:         72
        .size:           2
        .value_kind:     hidden_group_size_z
      - .offset:         74
        .size:           2
        .value_kind:     hidden_remainder_x
      - .offset:         76
        .size:           2
        .value_kind:     hidden_remainder_y
      - .offset:         78
        .size:           2
        .value_kind:     hidden_remainder_z
      - .offset:         96
        .size:           8
        .value_kind:     hidden_global_offset_x
      - .offset:         104
        .size:           8
        .value_kind:     hidden_global_offset_y
      - .offset:         112
        .size:           8
        .value_kind:     hidden_global_offset_z
      - .offset:         120
        .size:           2
        .value_kind:     hidden_grid_dims
    .group_segment_fixed_size: 0
    .kernarg_segment_align: 8
    .kernarg_segment_size: 312
    .language:       OpenCL C
    .language_version:
      - 2
      - 0
    .max_flat_workgroup_size: 32
    .name:           _Z30fast_hadamard_transform_kernelI37fast_hadamard_transform_kernel_traitsILi32ELi8EfEEv18HadamardParamsBase
    .private_segment_fixed_size: 0
    .sgpr_count:     18
    .sgpr_spill_count: 0
    .symbol:         _Z30fast_hadamard_transform_kernelI37fast_hadamard_transform_kernel_traitsILi32ELi8EfEEv18HadamardParamsBase.kd
    .uniform_work_group_size: 1
    .uses_dynamic_stack: false
    .vgpr_count:     22
    .vgpr_spill_count: 0
    .wavefront_size: 32
    .workgroup_processor_mode: 1
  - .args:
      - .offset:         0
        .size:           56
        .value_kind:     by_value
      - .offset:         56
        .size:           4
        .value_kind:     hidden_block_count_x
      - .offset:         60
        .size:           4
        .value_kind:     hidden_block_count_y
      - .offset:         64
        .size:           4
        .value_kind:     hidden_block_count_z
      - .offset:         68
        .size:           2
        .value_kind:     hidden_group_size_x
      - .offset:         70
        .size:           2
        .value_kind:     hidden_group_size_y
      - .offset:         72
        .size:           2
        .value_kind:     hidden_group_size_z
      - .offset:         74
        .size:           2
        .value_kind:     hidden_remainder_x
      - .offset:         76
        .size:           2
        .value_kind:     hidden_remainder_y
      - .offset:         78
        .size:           2
        .value_kind:     hidden_remainder_z
      - .offset:         96
        .size:           8
        .value_kind:     hidden_global_offset_x
      - .offset:         104
        .size:           8
        .value_kind:     hidden_global_offset_y
      - .offset:         112
        .size:           8
        .value_kind:     hidden_global_offset_z
      - .offset:         120
        .size:           2
        .value_kind:     hidden_grid_dims
    .group_segment_fixed_size: 0
    .kernarg_segment_align: 8
    .kernarg_segment_size: 312
    .language:       OpenCL C
    .language_version:
      - 2
      - 0
    .max_flat_workgroup_size: 32
    .name:           _Z30fast_hadamard_transform_kernelI37fast_hadamard_transform_kernel_traitsILi32ELi9EfEEv18HadamardParamsBase
    .private_segment_fixed_size: 0
    .sgpr_count:     18
    .sgpr_spill_count: 0
    .symbol:         _Z30fast_hadamard_transform_kernelI37fast_hadamard_transform_kernel_traitsILi32ELi9EfEEv18HadamardParamsBase.kd
    .uniform_work_group_size: 1
    .uses_dynamic_stack: false
    .vgpr_count:     34
    .vgpr_spill_count: 0
    .wavefront_size: 32
    .workgroup_processor_mode: 1
  - .args:
      - .offset:         0
        .size:           56
        .value_kind:     by_value
      - .offset:         56
        .size:           4
        .value_kind:     hidden_block_count_x
      - .offset:         60
        .size:           4
        .value_kind:     hidden_block_count_y
      - .offset:         64
        .size:           4
        .value_kind:     hidden_block_count_z
      - .offset:         68
        .size:           2
        .value_kind:     hidden_group_size_x
      - .offset:         70
        .size:           2
        .value_kind:     hidden_group_size_y
      - .offset:         72
        .size:           2
        .value_kind:     hidden_group_size_z
      - .offset:         74
        .size:           2
        .value_kind:     hidden_remainder_x
      - .offset:         76
        .size:           2
        .value_kind:     hidden_remainder_y
      - .offset:         78
        .size:           2
        .value_kind:     hidden_remainder_z
      - .offset:         96
        .size:           8
        .value_kind:     hidden_global_offset_x
      - .offset:         104
        .size:           8
        .value_kind:     hidden_global_offset_y
      - .offset:         112
        .size:           8
        .value_kind:     hidden_global_offset_z
      - .offset:         120
        .size:           2
        .value_kind:     hidden_grid_dims
      - .offset:         176
        .size:           4
        .value_kind:     hidden_dynamic_lds_size
    .group_segment_fixed_size: 0
    .kernarg_segment_align: 8
    .kernarg_segment_size: 312
    .language:       OpenCL C
    .language_version:
      - 2
      - 0
    .max_flat_workgroup_size: 128
    .name:           _Z30fast_hadamard_transform_kernelI37fast_hadamard_transform_kernel_traitsILi128ELi10EfEEv18HadamardParamsBase
    .private_segment_fixed_size: 0
    .sgpr_count:     22
    .sgpr_spill_count: 0
    .symbol:         _Z30fast_hadamard_transform_kernelI37fast_hadamard_transform_kernel_traitsILi128ELi10EfEEv18HadamardParamsBase.kd
    .uniform_work_group_size: 1
    .uses_dynamic_stack: false
    .vgpr_count:     24
    .vgpr_spill_count: 0
    .wavefront_size: 32
    .workgroup_processor_mode: 1
  - .args:
      - .offset:         0
        .size:           56
        .value_kind:     by_value
      - .offset:         56
        .size:           4
        .value_kind:     hidden_block_count_x
      - .offset:         60
        .size:           4
        .value_kind:     hidden_block_count_y
      - .offset:         64
        .size:           4
        .value_kind:     hidden_block_count_z
      - .offset:         68
        .size:           2
        .value_kind:     hidden_group_size_x
      - .offset:         70
        .size:           2
        .value_kind:     hidden_group_size_y
      - .offset:         72
        .size:           2
        .value_kind:     hidden_group_size_z
      - .offset:         74
        .size:           2
        .value_kind:     hidden_remainder_x
      - .offset:         76
        .size:           2
        .value_kind:     hidden_remainder_y
      - .offset:         78
        .size:           2
        .value_kind:     hidden_remainder_z
      - .offset:         96
        .size:           8
        .value_kind:     hidden_global_offset_x
      - .offset:         104
        .size:           8
        .value_kind:     hidden_global_offset_y
      - .offset:         112
        .size:           8
        .value_kind:     hidden_global_offset_z
      - .offset:         120
        .size:           2
        .value_kind:     hidden_grid_dims
      - .offset:         176
        .size:           4
        .value_kind:     hidden_dynamic_lds_size
    .group_segment_fixed_size: 0
    .kernarg_segment_align: 8
    .kernarg_segment_size: 312
    .language:       OpenCL C
    .language_version:
      - 2
      - 0
    .max_flat_workgroup_size: 256
    .name:           _Z30fast_hadamard_transform_kernelI37fast_hadamard_transform_kernel_traitsILi256ELi11EfEEv18HadamardParamsBase
    .private_segment_fixed_size: 0
    .sgpr_count:     22
    .sgpr_spill_count: 0
    .symbol:         _Z30fast_hadamard_transform_kernelI37fast_hadamard_transform_kernel_traitsILi256ELi11EfEEv18HadamardParamsBase.kd
    .uniform_work_group_size: 1
    .uses_dynamic_stack: false
    .vgpr_count:     24
    .vgpr_spill_count: 0
    .wavefront_size: 32
    .workgroup_processor_mode: 1
  - .args:
      - .offset:         0
        .size:           56
        .value_kind:     by_value
      - .offset:         56
        .size:           4
        .value_kind:     hidden_block_count_x
      - .offset:         60
        .size:           4
        .value_kind:     hidden_block_count_y
      - .offset:         64
        .size:           4
        .value_kind:     hidden_block_count_z
      - .offset:         68
        .size:           2
        .value_kind:     hidden_group_size_x
      - .offset:         70
        .size:           2
        .value_kind:     hidden_group_size_y
      - .offset:         72
        .size:           2
        .value_kind:     hidden_group_size_z
      - .offset:         74
        .size:           2
        .value_kind:     hidden_remainder_x
      - .offset:         76
        .size:           2
        .value_kind:     hidden_remainder_y
      - .offset:         78
        .size:           2
        .value_kind:     hidden_remainder_z
      - .offset:         96
        .size:           8
        .value_kind:     hidden_global_offset_x
      - .offset:         104
        .size:           8
        .value_kind:     hidden_global_offset_y
      - .offset:         112
        .size:           8
        .value_kind:     hidden_global_offset_z
      - .offset:         120
        .size:           2
        .value_kind:     hidden_grid_dims
      - .offset:         176
        .size:           4
        .value_kind:     hidden_dynamic_lds_size
    .group_segment_fixed_size: 0
    .kernarg_segment_align: 8
    .kernarg_segment_size: 312
    .language:       OpenCL C
    .language_version:
      - 2
      - 0
    .max_flat_workgroup_size: 256
    .name:           _Z30fast_hadamard_transform_kernelI37fast_hadamard_transform_kernel_traitsILi256ELi12EfEEv18HadamardParamsBase
    .private_segment_fixed_size: 0
    .sgpr_count:     22
    .sgpr_spill_count: 0
    .symbol:         _Z30fast_hadamard_transform_kernelI37fast_hadamard_transform_kernel_traitsILi256ELi12EfEEv18HadamardParamsBase.kd
    .uniform_work_group_size: 1
    .uses_dynamic_stack: false
    .vgpr_count:     36
    .vgpr_spill_count: 0
    .wavefront_size: 32
    .workgroup_processor_mode: 1
  - .args:
      - .offset:         0
        .size:           56
        .value_kind:     by_value
      - .offset:         56
        .size:           4
        .value_kind:     hidden_block_count_x
      - .offset:         60
        .size:           4
        .value_kind:     hidden_block_count_y
      - .offset:         64
        .size:           4
        .value_kind:     hidden_block_count_z
      - .offset:         68
        .size:           2
        .value_kind:     hidden_group_size_x
      - .offset:         70
        .size:           2
        .value_kind:     hidden_group_size_y
      - .offset:         72
        .size:           2
        .value_kind:     hidden_group_size_z
      - .offset:         74
        .size:           2
        .value_kind:     hidden_remainder_x
      - .offset:         76
        .size:           2
        .value_kind:     hidden_remainder_y
      - .offset:         78
        .size:           2
        .value_kind:     hidden_remainder_z
      - .offset:         96
        .size:           8
        .value_kind:     hidden_global_offset_x
      - .offset:         104
        .size:           8
        .value_kind:     hidden_global_offset_y
      - .offset:         112
        .size:           8
        .value_kind:     hidden_global_offset_z
      - .offset:         120
        .size:           2
        .value_kind:     hidden_grid_dims
      - .offset:         176
        .size:           4
        .value_kind:     hidden_dynamic_lds_size
    .group_segment_fixed_size: 0
    .kernarg_segment_align: 8
    .kernarg_segment_size: 312
    .language:       OpenCL C
    .language_version:
      - 2
      - 0
    .max_flat_workgroup_size: 256
    .name:           _Z30fast_hadamard_transform_kernelI37fast_hadamard_transform_kernel_traitsILi256ELi13EfEEv18HadamardParamsBase
    .private_segment_fixed_size: 0
    .sgpr_count:     26
    .sgpr_spill_count: 0
    .symbol:         _Z30fast_hadamard_transform_kernelI37fast_hadamard_transform_kernel_traitsILi256ELi13EfEEv18HadamardParamsBase.kd
    .uniform_work_group_size: 1
    .uses_dynamic_stack: false
    .vgpr_count:     70
    .vgpr_spill_count: 0
    .wavefront_size: 32
    .workgroup_processor_mode: 1
  - .args:
      - .offset:         0
        .size:           56
        .value_kind:     by_value
      - .offset:         56
        .size:           4
        .value_kind:     hidden_block_count_x
      - .offset:         60
        .size:           4
        .value_kind:     hidden_block_count_y
      - .offset:         64
        .size:           4
        .value_kind:     hidden_block_count_z
      - .offset:         68
        .size:           2
        .value_kind:     hidden_group_size_x
      - .offset:         70
        .size:           2
        .value_kind:     hidden_group_size_y
      - .offset:         72
        .size:           2
        .value_kind:     hidden_group_size_z
      - .offset:         74
        .size:           2
        .value_kind:     hidden_remainder_x
      - .offset:         76
        .size:           2
        .value_kind:     hidden_remainder_y
      - .offset:         78
        .size:           2
        .value_kind:     hidden_remainder_z
      - .offset:         96
        .size:           8
        .value_kind:     hidden_global_offset_x
      - .offset:         104
        .size:           8
        .value_kind:     hidden_global_offset_y
      - .offset:         112
        .size:           8
        .value_kind:     hidden_global_offset_z
      - .offset:         120
        .size:           2
        .value_kind:     hidden_grid_dims
      - .offset:         176
        .size:           4
        .value_kind:     hidden_dynamic_lds_size
    .group_segment_fixed_size: 0
    .kernarg_segment_align: 8
    .kernarg_segment_size: 312
    .language:       OpenCL C
    .language_version:
      - 2
      - 0
    .max_flat_workgroup_size: 256
    .name:           _Z30fast_hadamard_transform_kernelI37fast_hadamard_transform_kernel_traitsILi256ELi14EfEEv18HadamardParamsBase
    .private_segment_fixed_size: 0
    .sgpr_count:     32
    .sgpr_spill_count: 0
    .symbol:         _Z30fast_hadamard_transform_kernelI37fast_hadamard_transform_kernel_traitsILi256ELi14EfEEv18HadamardParamsBase.kd
    .uniform_work_group_size: 1
    .uses_dynamic_stack: false
    .vgpr_count:     152
    .vgpr_spill_count: 0
    .wavefront_size: 32
    .workgroup_processor_mode: 1
  - .args:
      - .offset:         0
        .size:           56
        .value_kind:     by_value
      - .offset:         56
        .size:           4
        .value_kind:     hidden_block_count_x
      - .offset:         60
        .size:           4
        .value_kind:     hidden_block_count_y
      - .offset:         64
        .size:           4
        .value_kind:     hidden_block_count_z
      - .offset:         68
        .size:           2
        .value_kind:     hidden_group_size_x
      - .offset:         70
        .size:           2
        .value_kind:     hidden_group_size_y
      - .offset:         72
        .size:           2
        .value_kind:     hidden_group_size_z
      - .offset:         74
        .size:           2
        .value_kind:     hidden_remainder_x
      - .offset:         76
        .size:           2
        .value_kind:     hidden_remainder_y
      - .offset:         78
        .size:           2
        .value_kind:     hidden_remainder_z
      - .offset:         96
        .size:           8
        .value_kind:     hidden_global_offset_x
      - .offset:         104
        .size:           8
        .value_kind:     hidden_global_offset_y
      - .offset:         112
        .size:           8
        .value_kind:     hidden_global_offset_z
      - .offset:         120
        .size:           2
        .value_kind:     hidden_grid_dims
      - .offset:         176
        .size:           4
        .value_kind:     hidden_dynamic_lds_size
    .group_segment_fixed_size: 0
    .kernarg_segment_align: 8
    .kernarg_segment_size: 312
    .language:       OpenCL C
    .language_version:
      - 2
      - 0
    .max_flat_workgroup_size: 256
    .name:           _Z30fast_hadamard_transform_kernelI37fast_hadamard_transform_kernel_traitsILi256ELi15EfEEv18HadamardParamsBase
    .private_segment_fixed_size: 284
    .sgpr_count:     51
    .sgpr_spill_count: 0
    .symbol:         _Z30fast_hadamard_transform_kernelI37fast_hadamard_transform_kernel_traitsILi256ELi15EfEEv18HadamardParamsBase.kd
    .uniform_work_group_size: 1
    .uses_dynamic_stack: false
    .vgpr_count:     256
    .vgpr_spill_count: 72
    .wavefront_size: 32
    .workgroup_processor_mode: 1
  - .args:
      - .offset:         0
        .size:           56
        .value_kind:     by_value
    .group_segment_fixed_size: 0
    .kernarg_segment_align: 8
    .kernarg_segment_size: 56
    .language:       OpenCL C
    .language_version:
      - 2
      - 0
    .max_flat_workgroup_size: 1
    .name:           _Z30fast_hadamard_transform_kernelI37fast_hadamard_transform_kernel_traitsILi1ELi3E6__halfEEv18HadamardParamsBase
    .private_segment_fixed_size: 0
    .sgpr_count:     16
    .sgpr_spill_count: 0
    .symbol:         _Z30fast_hadamard_transform_kernelI37fast_hadamard_transform_kernel_traitsILi1ELi3E6__halfEEv18HadamardParamsBase.kd
    .uniform_work_group_size: 1
    .uses_dynamic_stack: false
    .vgpr_count:     12
    .vgpr_spill_count: 0
    .wavefront_size: 32
    .workgroup_processor_mode: 1
  - .args:
      - .offset:         0
        .size:           56
        .value_kind:     by_value
    .group_segment_fixed_size: 0
    .kernarg_segment_align: 8
    .kernarg_segment_size: 56
    .language:       OpenCL C
    .language_version:
      - 2
      - 0
    .max_flat_workgroup_size: 2
    .name:           _Z30fast_hadamard_transform_kernelI37fast_hadamard_transform_kernel_traitsILi2ELi4E6__halfEEv18HadamardParamsBase
    .private_segment_fixed_size: 0
    .sgpr_count:     18
    .sgpr_spill_count: 0
    .symbol:         _Z30fast_hadamard_transform_kernelI37fast_hadamard_transform_kernel_traitsILi2ELi4E6__halfEEv18HadamardParamsBase.kd
    .uniform_work_group_size: 1
    .uses_dynamic_stack: false
    .vgpr_count:     18
    .vgpr_spill_count: 0
    .wavefront_size: 32
    .workgroup_processor_mode: 1
  - .args:
      - .offset:         0
        .size:           56
        .value_kind:     by_value
    .group_segment_fixed_size: 0
    .kernarg_segment_align: 8
    .kernarg_segment_size: 56
    .language:       OpenCL C
    .language_version:
      - 2
      - 0
    .max_flat_workgroup_size: 4
    .name:           _Z30fast_hadamard_transform_kernelI37fast_hadamard_transform_kernel_traitsILi4ELi5E6__halfEEv18HadamardParamsBase
    .private_segment_fixed_size: 0
    .sgpr_count:     18
    .sgpr_spill_count: 0
    .symbol:         _Z30fast_hadamard_transform_kernelI37fast_hadamard_transform_kernel_traitsILi4ELi5E6__halfEEv18HadamardParamsBase.kd
    .uniform_work_group_size: 1
    .uses_dynamic_stack: false
    .vgpr_count:     22
    .vgpr_spill_count: 0
    .wavefront_size: 32
    .workgroup_processor_mode: 1
  - .args:
      - .offset:         0
        .size:           56
        .value_kind:     by_value
    .group_segment_fixed_size: 0
    .kernarg_segment_align: 8
    .kernarg_segment_size: 56
    .language:       OpenCL C
    .language_version:
      - 2
      - 0
    .max_flat_workgroup_size: 8
    .name:           _Z30fast_hadamard_transform_kernelI37fast_hadamard_transform_kernel_traitsILi8ELi6E6__halfEEv18HadamardParamsBase
    .private_segment_fixed_size: 0
    .sgpr_count:     18
    .sgpr_spill_count: 0
    .symbol:         _Z30fast_hadamard_transform_kernelI37fast_hadamard_transform_kernel_traitsILi8ELi6E6__halfEEv18HadamardParamsBase.kd
    .uniform_work_group_size: 1
    .uses_dynamic_stack: false
    .vgpr_count:     21
    .vgpr_spill_count: 0
    .wavefront_size: 32
    .workgroup_processor_mode: 1
  - .args:
      - .offset:         0
        .size:           56
        .value_kind:     by_value
    .group_segment_fixed_size: 0
    .kernarg_segment_align: 8
    .kernarg_segment_size: 56
    .language:       OpenCL C
    .language_version:
      - 2
      - 0
    .max_flat_workgroup_size: 16
    .name:           _Z30fast_hadamard_transform_kernelI37fast_hadamard_transform_kernel_traitsILi16ELi7E6__halfEEv18HadamardParamsBase
    .private_segment_fixed_size: 0
    .sgpr_count:     18
    .sgpr_spill_count: 0
    .symbol:         _Z30fast_hadamard_transform_kernelI37fast_hadamard_transform_kernel_traitsILi16ELi7E6__halfEEv18HadamardParamsBase.kd
    .uniform_work_group_size: 1
    .uses_dynamic_stack: false
    .vgpr_count:     22
    .vgpr_spill_count: 0
    .wavefront_size: 32
    .workgroup_processor_mode: 1
  - .args:
      - .offset:         0
        .size:           56
        .value_kind:     by_value
    .group_segment_fixed_size: 0
    .kernarg_segment_align: 8
    .kernarg_segment_size: 56
    .language:       OpenCL C
    .language_version:
      - 2
      - 0
    .max_flat_workgroup_size: 32
    .name:           _Z30fast_hadamard_transform_kernelI37fast_hadamard_transform_kernel_traitsILi32ELi8E6__halfEEv18HadamardParamsBase
    .private_segment_fixed_size: 0
    .sgpr_count:     18
    .sgpr_spill_count: 0
    .symbol:         _Z30fast_hadamard_transform_kernelI37fast_hadamard_transform_kernel_traitsILi32ELi8E6__halfEEv18HadamardParamsBase.kd
    .uniform_work_group_size: 1
    .uses_dynamic_stack: false
    .vgpr_count:     21
    .vgpr_spill_count: 0
    .wavefront_size: 32
    .workgroup_processor_mode: 1
  - .args:
      - .offset:         0
        .size:           56
        .value_kind:     by_value
      - .offset:         56
        .size:           4
        .value_kind:     hidden_block_count_x
      - .offset:         60
        .size:           4
        .value_kind:     hidden_block_count_y
      - .offset:         64
        .size:           4
        .value_kind:     hidden_block_count_z
      - .offset:         68
        .size:           2
        .value_kind:     hidden_group_size_x
      - .offset:         70
        .size:           2
        .value_kind:     hidden_group_size_y
      - .offset:         72
        .size:           2
        .value_kind:     hidden_group_size_z
      - .offset:         74
        .size:           2
        .value_kind:     hidden_remainder_x
      - .offset:         76
        .size:           2
        .value_kind:     hidden_remainder_y
      - .offset:         78
        .size:           2
        .value_kind:     hidden_remainder_z
      - .offset:         96
        .size:           8
        .value_kind:     hidden_global_offset_x
      - .offset:         104
        .size:           8
        .value_kind:     hidden_global_offset_y
      - .offset:         112
        .size:           8
        .value_kind:     hidden_global_offset_z
      - .offset:         120
        .size:           2
        .value_kind:     hidden_grid_dims
    .group_segment_fixed_size: 0
    .kernarg_segment_align: 8
    .kernarg_segment_size: 312
    .language:       OpenCL C
    .language_version:
      - 2
      - 0
    .max_flat_workgroup_size: 32
    .name:           _Z30fast_hadamard_transform_kernelI37fast_hadamard_transform_kernel_traitsILi32ELi9E6__halfEEv18HadamardParamsBase
    .private_segment_fixed_size: 0
    .sgpr_count:     18
    .sgpr_spill_count: 0
    .symbol:         _Z30fast_hadamard_transform_kernelI37fast_hadamard_transform_kernel_traitsILi32ELi9E6__halfEEv18HadamardParamsBase.kd
    .uniform_work_group_size: 1
    .uses_dynamic_stack: false
    .vgpr_count:     38
    .vgpr_spill_count: 0
    .wavefront_size: 32
    .workgroup_processor_mode: 1
  - .args:
      - .offset:         0
        .size:           56
        .value_kind:     by_value
    .group_segment_fixed_size: 0
    .kernarg_segment_align: 8
    .kernarg_segment_size: 56
    .language:       OpenCL C
    .language_version:
      - 2
      - 0
    .max_flat_workgroup_size: 128
    .name:           _Z30fast_hadamard_transform_kernelI37fast_hadamard_transform_kernel_traitsILi128ELi10E6__halfEEv18HadamardParamsBase
    .private_segment_fixed_size: 0
    .sgpr_count:     18
    .sgpr_spill_count: 0
    .symbol:         _Z30fast_hadamard_transform_kernelI37fast_hadamard_transform_kernel_traitsILi128ELi10E6__halfEEv18HadamardParamsBase.kd
    .uniform_work_group_size: 1
    .uses_dynamic_stack: false
    .vgpr_count:     23
    .vgpr_spill_count: 0
    .wavefront_size: 32
    .workgroup_processor_mode: 1
  - .args:
      - .offset:         0
        .size:           56
        .value_kind:     by_value
    .group_segment_fixed_size: 0
    .kernarg_segment_align: 8
    .kernarg_segment_size: 56
    .language:       OpenCL C
    .language_version:
      - 2
      - 0
    .max_flat_workgroup_size: 256
    .name:           _Z30fast_hadamard_transform_kernelI37fast_hadamard_transform_kernel_traitsILi256ELi11E6__halfEEv18HadamardParamsBase
    .private_segment_fixed_size: 0
    .sgpr_count:     18
    .sgpr_spill_count: 0
    .symbol:         _Z30fast_hadamard_transform_kernelI37fast_hadamard_transform_kernel_traitsILi256ELi11E6__halfEEv18HadamardParamsBase.kd
    .uniform_work_group_size: 1
    .uses_dynamic_stack: false
    .vgpr_count:     24
    .vgpr_spill_count: 0
    .wavefront_size: 32
    .workgroup_processor_mode: 1
  - .args:
      - .offset:         0
        .size:           56
        .value_kind:     by_value
      - .offset:         56
        .size:           4
        .value_kind:     hidden_block_count_x
      - .offset:         60
        .size:           4
        .value_kind:     hidden_block_count_y
      - .offset:         64
        .size:           4
        .value_kind:     hidden_block_count_z
      - .offset:         68
        .size:           2
        .value_kind:     hidden_group_size_x
      - .offset:         70
        .size:           2
        .value_kind:     hidden_group_size_y
      - .offset:         72
        .size:           2
        .value_kind:     hidden_group_size_z
      - .offset:         74
        .size:           2
        .value_kind:     hidden_remainder_x
      - .offset:         76
        .size:           2
        .value_kind:     hidden_remainder_y
      - .offset:         78
        .size:           2
        .value_kind:     hidden_remainder_z
      - .offset:         96
        .size:           8
        .value_kind:     hidden_global_offset_x
      - .offset:         104
        .size:           8
        .value_kind:     hidden_global_offset_y
      - .offset:         112
        .size:           8
        .value_kind:     hidden_global_offset_z
      - .offset:         120
        .size:           2
        .value_kind:     hidden_grid_dims
      - .offset:         176
        .size:           4
        .value_kind:     hidden_dynamic_lds_size
    .group_segment_fixed_size: 0
    .kernarg_segment_align: 8
    .kernarg_segment_size: 312
    .language:       OpenCL C
    .language_version:
      - 2
      - 0
    .max_flat_workgroup_size: 256
    .name:           _Z30fast_hadamard_transform_kernelI37fast_hadamard_transform_kernel_traitsILi256ELi12E6__halfEEv18HadamardParamsBase
    .private_segment_fixed_size: 0
    .sgpr_count:     22
    .sgpr_spill_count: 0
    .symbol:         _Z30fast_hadamard_transform_kernelI37fast_hadamard_transform_kernel_traitsILi256ELi12E6__halfEEv18HadamardParamsBase.kd
    .uniform_work_group_size: 1
    .uses_dynamic_stack: false
    .vgpr_count:     35
    .vgpr_spill_count: 0
    .wavefront_size: 32
    .workgroup_processor_mode: 1
  - .args:
      - .offset:         0
        .size:           56
        .value_kind:     by_value
      - .offset:         56
        .size:           4
        .value_kind:     hidden_block_count_x
      - .offset:         60
        .size:           4
        .value_kind:     hidden_block_count_y
      - .offset:         64
        .size:           4
        .value_kind:     hidden_block_count_z
      - .offset:         68
        .size:           2
        .value_kind:     hidden_group_size_x
      - .offset:         70
        .size:           2
        .value_kind:     hidden_group_size_y
      - .offset:         72
        .size:           2
        .value_kind:     hidden_group_size_z
      - .offset:         74
        .size:           2
        .value_kind:     hidden_remainder_x
      - .offset:         76
        .size:           2
        .value_kind:     hidden_remainder_y
      - .offset:         78
        .size:           2
        .value_kind:     hidden_remainder_z
      - .offset:         96
        .size:           8
        .value_kind:     hidden_global_offset_x
      - .offset:         104
        .size:           8
        .value_kind:     hidden_global_offset_y
      - .offset:         112
        .size:           8
        .value_kind:     hidden_global_offset_z
      - .offset:         120
        .size:           2
        .value_kind:     hidden_grid_dims
      - .offset:         176
        .size:           4
        .value_kind:     hidden_dynamic_lds_size
    .group_segment_fixed_size: 0
    .kernarg_segment_align: 8
    .kernarg_segment_size: 312
    .language:       OpenCL C
    .language_version:
      - 2
      - 0
    .max_flat_workgroup_size: 256
    .name:           _Z30fast_hadamard_transform_kernelI37fast_hadamard_transform_kernel_traitsILi256ELi13E6__halfEEv18HadamardParamsBase
    .private_segment_fixed_size: 0
    .sgpr_count:     22
    .sgpr_spill_count: 0
    .symbol:         _Z30fast_hadamard_transform_kernelI37fast_hadamard_transform_kernel_traitsILi256ELi13E6__halfEEv18HadamardParamsBase.kd
    .uniform_work_group_size: 1
    .uses_dynamic_stack: false
    .vgpr_count:     62
    .vgpr_spill_count: 0
    .wavefront_size: 32
    .workgroup_processor_mode: 1
  - .args:
      - .offset:         0
        .size:           56
        .value_kind:     by_value
      - .offset:         56
        .size:           4
        .value_kind:     hidden_block_count_x
      - .offset:         60
        .size:           4
        .value_kind:     hidden_block_count_y
      - .offset:         64
        .size:           4
        .value_kind:     hidden_block_count_z
      - .offset:         68
        .size:           2
        .value_kind:     hidden_group_size_x
      - .offset:         70
        .size:           2
        .value_kind:     hidden_group_size_y
      - .offset:         72
        .size:           2
        .value_kind:     hidden_group_size_z
      - .offset:         74
        .size:           2
        .value_kind:     hidden_remainder_x
      - .offset:         76
        .size:           2
        .value_kind:     hidden_remainder_y
      - .offset:         78
        .size:           2
        .value_kind:     hidden_remainder_z
      - .offset:         96
        .size:           8
        .value_kind:     hidden_global_offset_x
      - .offset:         104
        .size:           8
        .value_kind:     hidden_global_offset_y
      - .offset:         112
        .size:           8
        .value_kind:     hidden_global_offset_z
      - .offset:         120
        .size:           2
        .value_kind:     hidden_grid_dims
      - .offset:         176
        .size:           4
        .value_kind:     hidden_dynamic_lds_size
    .group_segment_fixed_size: 0
    .kernarg_segment_align: 8
    .kernarg_segment_size: 312
    .language:       OpenCL C
    .language_version:
      - 2
      - 0
    .max_flat_workgroup_size: 256
    .name:           _Z30fast_hadamard_transform_kernelI37fast_hadamard_transform_kernel_traitsILi256ELi14E6__halfEEv18HadamardParamsBase
    .private_segment_fixed_size: 0
    .sgpr_count:     26
    .sgpr_spill_count: 0
    .symbol:         _Z30fast_hadamard_transform_kernelI37fast_hadamard_transform_kernel_traitsILi256ELi14E6__halfEEv18HadamardParamsBase.kd
    .uniform_work_group_size: 1
    .uses_dynamic_stack: false
    .vgpr_count:     140
    .vgpr_spill_count: 0
    .wavefront_size: 32
    .workgroup_processor_mode: 1
  - .args:
      - .offset:         0
        .size:           56
        .value_kind:     by_value
      - .offset:         56
        .size:           4
        .value_kind:     hidden_block_count_x
      - .offset:         60
        .size:           4
        .value_kind:     hidden_block_count_y
      - .offset:         64
        .size:           4
        .value_kind:     hidden_block_count_z
      - .offset:         68
        .size:           2
        .value_kind:     hidden_group_size_x
      - .offset:         70
        .size:           2
        .value_kind:     hidden_group_size_y
      - .offset:         72
        .size:           2
        .value_kind:     hidden_group_size_z
      - .offset:         74
        .size:           2
        .value_kind:     hidden_remainder_x
      - .offset:         76
        .size:           2
        .value_kind:     hidden_remainder_y
      - .offset:         78
        .size:           2
        .value_kind:     hidden_remainder_z
      - .offset:         96
        .size:           8
        .value_kind:     hidden_global_offset_x
      - .offset:         104
        .size:           8
        .value_kind:     hidden_global_offset_y
      - .offset:         112
        .size:           8
        .value_kind:     hidden_global_offset_z
      - .offset:         120
        .size:           2
        .value_kind:     hidden_grid_dims
      - .offset:         176
        .size:           4
        .value_kind:     hidden_dynamic_lds_size
    .group_segment_fixed_size: 0
    .kernarg_segment_align: 8
    .kernarg_segment_size: 312
    .language:       OpenCL C
    .language_version:
      - 2
      - 0
    .max_flat_workgroup_size: 256
    .name:           _Z30fast_hadamard_transform_kernelI37fast_hadamard_transform_kernel_traitsILi256ELi15E6__halfEEv18HadamardParamsBase
    .private_segment_fixed_size: 140
    .sgpr_count:     32
    .sgpr_spill_count: 0
    .symbol:         _Z30fast_hadamard_transform_kernelI37fast_hadamard_transform_kernel_traitsILi256ELi15E6__halfEEv18HadamardParamsBase.kd
    .uniform_work_group_size: 1
    .uses_dynamic_stack: false
    .vgpr_count:     256
    .vgpr_spill_count: 36
    .wavefront_size: 32
    .workgroup_processor_mode: 1
  - .args:
      - .offset:         0
        .size:           56
        .value_kind:     by_value
    .group_segment_fixed_size: 0
    .kernarg_segment_align: 8
    .kernarg_segment_size: 56
    .language:       OpenCL C
    .language_version:
      - 2
      - 0
    .max_flat_workgroup_size: 1
    .name:           _Z30fast_hadamard_transform_kernelI37fast_hadamard_transform_kernel_traitsILi1ELi3E14__hip_bfloat16EEv18HadamardParamsBase
    .private_segment_fixed_size: 0
    .sgpr_count:     22
    .sgpr_spill_count: 0
    .symbol:         _Z30fast_hadamard_transform_kernelI37fast_hadamard_transform_kernel_traitsILi1ELi3E14__hip_bfloat16EEv18HadamardParamsBase.kd
    .uniform_work_group_size: 1
    .uses_dynamic_stack: false
    .vgpr_count:     14
    .vgpr_spill_count: 0
    .wavefront_size: 32
    .workgroup_processor_mode: 1
  - .args:
      - .offset:         0
        .size:           56
        .value_kind:     by_value
    .group_segment_fixed_size: 0
    .kernarg_segment_align: 8
    .kernarg_segment_size: 56
    .language:       OpenCL C
    .language_version:
      - 2
      - 0
    .max_flat_workgroup_size: 2
    .name:           _Z30fast_hadamard_transform_kernelI37fast_hadamard_transform_kernel_traitsILi2ELi4E14__hip_bfloat16EEv18HadamardParamsBase
    .private_segment_fixed_size: 0
    .sgpr_count:     18
    .sgpr_spill_count: 0
    .symbol:         _Z30fast_hadamard_transform_kernelI37fast_hadamard_transform_kernel_traitsILi2ELi4E14__hip_bfloat16EEv18HadamardParamsBase.kd
    .uniform_work_group_size: 1
    .uses_dynamic_stack: false
    .vgpr_count:     20
    .vgpr_spill_count: 0
    .wavefront_size: 32
    .workgroup_processor_mode: 1
  - .args:
      - .offset:         0
        .size:           56
        .value_kind:     by_value
    .group_segment_fixed_size: 0
    .kernarg_segment_align: 8
    .kernarg_segment_size: 56
    .language:       OpenCL C
    .language_version:
      - 2
      - 0
    .max_flat_workgroup_size: 4
    .name:           _Z30fast_hadamard_transform_kernelI37fast_hadamard_transform_kernel_traitsILi4ELi5E14__hip_bfloat16EEv18HadamardParamsBase
    .private_segment_fixed_size: 0
    .sgpr_count:     18
    .sgpr_spill_count: 0
    .symbol:         _Z30fast_hadamard_transform_kernelI37fast_hadamard_transform_kernel_traitsILi4ELi5E14__hip_bfloat16EEv18HadamardParamsBase.kd
    .uniform_work_group_size: 1
    .uses_dynamic_stack: false
    .vgpr_count:     22
    .vgpr_spill_count: 0
    .wavefront_size: 32
    .workgroup_processor_mode: 1
  - .args:
      - .offset:         0
        .size:           56
        .value_kind:     by_value
    .group_segment_fixed_size: 0
    .kernarg_segment_align: 8
    .kernarg_segment_size: 56
    .language:       OpenCL C
    .language_version:
      - 2
      - 0
    .max_flat_workgroup_size: 8
    .name:           _Z30fast_hadamard_transform_kernelI37fast_hadamard_transform_kernel_traitsILi8ELi6E14__hip_bfloat16EEv18HadamardParamsBase
    .private_segment_fixed_size: 0
    .sgpr_count:     18
    .sgpr_spill_count: 0
    .symbol:         _Z30fast_hadamard_transform_kernelI37fast_hadamard_transform_kernel_traitsILi8ELi6E14__hip_bfloat16EEv18HadamardParamsBase.kd
    .uniform_work_group_size: 1
    .uses_dynamic_stack: false
    .vgpr_count:     23
    .vgpr_spill_count: 0
    .wavefront_size: 32
    .workgroup_processor_mode: 1
  - .args:
      - .offset:         0
        .size:           56
        .value_kind:     by_value
    .group_segment_fixed_size: 0
    .kernarg_segment_align: 8
    .kernarg_segment_size: 56
    .language:       OpenCL C
    .language_version:
      - 2
      - 0
    .max_flat_workgroup_size: 16
    .name:           _Z30fast_hadamard_transform_kernelI37fast_hadamard_transform_kernel_traitsILi16ELi7E14__hip_bfloat16EEv18HadamardParamsBase
    .private_segment_fixed_size: 0
    .sgpr_count:     18
    .sgpr_spill_count: 0
    .symbol:         _Z30fast_hadamard_transform_kernelI37fast_hadamard_transform_kernel_traitsILi16ELi7E14__hip_bfloat16EEv18HadamardParamsBase.kd
    .uniform_work_group_size: 1
    .uses_dynamic_stack: false
    .vgpr_count:     22
    .vgpr_spill_count: 0
    .wavefront_size: 32
    .workgroup_processor_mode: 1
  - .args:
      - .offset:         0
        .size:           56
        .value_kind:     by_value
    .group_segment_fixed_size: 0
    .kernarg_segment_align: 8
    .kernarg_segment_size: 56
    .language:       OpenCL C
    .language_version:
      - 2
      - 0
    .max_flat_workgroup_size: 32
    .name:           _Z30fast_hadamard_transform_kernelI37fast_hadamard_transform_kernel_traitsILi32ELi8E14__hip_bfloat16EEv18HadamardParamsBase
    .private_segment_fixed_size: 0
    .sgpr_count:     18
    .sgpr_spill_count: 0
    .symbol:         _Z30fast_hadamard_transform_kernelI37fast_hadamard_transform_kernel_traitsILi32ELi8E14__hip_bfloat16EEv18HadamardParamsBase.kd
    .uniform_work_group_size: 1
    .uses_dynamic_stack: false
    .vgpr_count:     22
    .vgpr_spill_count: 0
    .wavefront_size: 32
    .workgroup_processor_mode: 1
  - .args:
      - .offset:         0
        .size:           56
        .value_kind:     by_value
      - .offset:         56
        .size:           4
        .value_kind:     hidden_block_count_x
      - .offset:         60
        .size:           4
        .value_kind:     hidden_block_count_y
      - .offset:         64
        .size:           4
        .value_kind:     hidden_block_count_z
      - .offset:         68
        .size:           2
        .value_kind:     hidden_group_size_x
      - .offset:         70
        .size:           2
        .value_kind:     hidden_group_size_y
      - .offset:         72
        .size:           2
        .value_kind:     hidden_group_size_z
      - .offset:         74
        .size:           2
        .value_kind:     hidden_remainder_x
      - .offset:         76
        .size:           2
        .value_kind:     hidden_remainder_y
      - .offset:         78
        .size:           2
        .value_kind:     hidden_remainder_z
      - .offset:         96
        .size:           8
        .value_kind:     hidden_global_offset_x
      - .offset:         104
        .size:           8
        .value_kind:     hidden_global_offset_y
      - .offset:         112
        .size:           8
        .value_kind:     hidden_global_offset_z
      - .offset:         120
        .size:           2
        .value_kind:     hidden_grid_dims
    .group_segment_fixed_size: 0
    .kernarg_segment_align: 8
    .kernarg_segment_size: 312
    .language:       OpenCL C
    .language_version:
      - 2
      - 0
    .max_flat_workgroup_size: 32
    .name:           _Z30fast_hadamard_transform_kernelI37fast_hadamard_transform_kernel_traitsILi32ELi9E14__hip_bfloat16EEv18HadamardParamsBase
    .private_segment_fixed_size: 0
    .sgpr_count:     18
    .sgpr_spill_count: 0
    .symbol:         _Z30fast_hadamard_transform_kernelI37fast_hadamard_transform_kernel_traitsILi32ELi9E14__hip_bfloat16EEv18HadamardParamsBase.kd
    .uniform_work_group_size: 1
    .uses_dynamic_stack: false
    .vgpr_count:     35
    .vgpr_spill_count: 0
    .wavefront_size: 32
    .workgroup_processor_mode: 1
  - .args:
      - .offset:         0
        .size:           56
        .value_kind:     by_value
    .group_segment_fixed_size: 0
    .kernarg_segment_align: 8
    .kernarg_segment_size: 56
    .language:       OpenCL C
    .language_version:
      - 2
      - 0
    .max_flat_workgroup_size: 128
    .name:           _Z30fast_hadamard_transform_kernelI37fast_hadamard_transform_kernel_traitsILi128ELi10E14__hip_bfloat16EEv18HadamardParamsBase
    .private_segment_fixed_size: 0
    .sgpr_count:     18
    .sgpr_spill_count: 0
    .symbol:         _Z30fast_hadamard_transform_kernelI37fast_hadamard_transform_kernel_traitsILi128ELi10E14__hip_bfloat16EEv18HadamardParamsBase.kd
    .uniform_work_group_size: 1
    .uses_dynamic_stack: false
    .vgpr_count:     23
    .vgpr_spill_count: 0
    .wavefront_size: 32
    .workgroup_processor_mode: 1
  - .args:
      - .offset:         0
        .size:           56
        .value_kind:     by_value
    .group_segment_fixed_size: 0
    .kernarg_segment_align: 8
    .kernarg_segment_size: 56
    .language:       OpenCL C
    .language_version:
      - 2
      - 0
    .max_flat_workgroup_size: 256
    .name:           _Z30fast_hadamard_transform_kernelI37fast_hadamard_transform_kernel_traitsILi256ELi11E14__hip_bfloat16EEv18HadamardParamsBase
    .private_segment_fixed_size: 0
    .sgpr_count:     18
    .sgpr_spill_count: 0
    .symbol:         _Z30fast_hadamard_transform_kernelI37fast_hadamard_transform_kernel_traitsILi256ELi11E14__hip_bfloat16EEv18HadamardParamsBase.kd
    .uniform_work_group_size: 1
    .uses_dynamic_stack: false
    .vgpr_count:     24
    .vgpr_spill_count: 0
    .wavefront_size: 32
    .workgroup_processor_mode: 1
  - .args:
      - .offset:         0
        .size:           56
        .value_kind:     by_value
      - .offset:         56
        .size:           4
        .value_kind:     hidden_block_count_x
      - .offset:         60
        .size:           4
        .value_kind:     hidden_block_count_y
      - .offset:         64
        .size:           4
        .value_kind:     hidden_block_count_z
      - .offset:         68
        .size:           2
        .value_kind:     hidden_group_size_x
      - .offset:         70
        .size:           2
        .value_kind:     hidden_group_size_y
      - .offset:         72
        .size:           2
        .value_kind:     hidden_group_size_z
      - .offset:         74
        .size:           2
        .value_kind:     hidden_remainder_x
      - .offset:         76
        .size:           2
        .value_kind:     hidden_remainder_y
      - .offset:         78
        .size:           2
        .value_kind:     hidden_remainder_z
      - .offset:         96
        .size:           8
        .value_kind:     hidden_global_offset_x
      - .offset:         104
        .size:           8
        .value_kind:     hidden_global_offset_y
      - .offset:         112
        .size:           8
        .value_kind:     hidden_global_offset_z
      - .offset:         120
        .size:           2
        .value_kind:     hidden_grid_dims
      - .offset:         176
        .size:           4
        .value_kind:     hidden_dynamic_lds_size
    .group_segment_fixed_size: 0
    .kernarg_segment_align: 8
    .kernarg_segment_size: 312
    .language:       OpenCL C
    .language_version:
      - 2
      - 0
    .max_flat_workgroup_size: 256
    .name:           _Z30fast_hadamard_transform_kernelI37fast_hadamard_transform_kernel_traitsILi256ELi12E14__hip_bfloat16EEv18HadamardParamsBase
    .private_segment_fixed_size: 0
    .sgpr_count:     18
    .sgpr_spill_count: 0
    .symbol:         _Z30fast_hadamard_transform_kernelI37fast_hadamard_transform_kernel_traitsILi256ELi12E14__hip_bfloat16EEv18HadamardParamsBase.kd
    .uniform_work_group_size: 1
    .uses_dynamic_stack: false
    .vgpr_count:     34
    .vgpr_spill_count: 0
    .wavefront_size: 32
    .workgroup_processor_mode: 1
  - .args:
      - .offset:         0
        .size:           56
        .value_kind:     by_value
      - .offset:         56
        .size:           4
        .value_kind:     hidden_block_count_x
      - .offset:         60
        .size:           4
        .value_kind:     hidden_block_count_y
      - .offset:         64
        .size:           4
        .value_kind:     hidden_block_count_z
      - .offset:         68
        .size:           2
        .value_kind:     hidden_group_size_x
      - .offset:         70
        .size:           2
        .value_kind:     hidden_group_size_y
      - .offset:         72
        .size:           2
        .value_kind:     hidden_group_size_z
      - .offset:         74
        .size:           2
        .value_kind:     hidden_remainder_x
      - .offset:         76
        .size:           2
        .value_kind:     hidden_remainder_y
      - .offset:         78
        .size:           2
        .value_kind:     hidden_remainder_z
      - .offset:         96
        .size:           8
        .value_kind:     hidden_global_offset_x
      - .offset:         104
        .size:           8
        .value_kind:     hidden_global_offset_y
      - .offset:         112
        .size:           8
        .value_kind:     hidden_global_offset_z
      - .offset:         120
        .size:           2
        .value_kind:     hidden_grid_dims
      - .offset:         176
        .size:           4
        .value_kind:     hidden_dynamic_lds_size
    .group_segment_fixed_size: 0
    .kernarg_segment_align: 8
    .kernarg_segment_size: 312
    .language:       OpenCL C
    .language_version:
      - 2
      - 0
    .max_flat_workgroup_size: 256
    .name:           _Z30fast_hadamard_transform_kernelI37fast_hadamard_transform_kernel_traitsILi256ELi13E14__hip_bfloat16EEv18HadamardParamsBase
    .private_segment_fixed_size: 0
    .sgpr_count:     22
    .sgpr_spill_count: 0
    .symbol:         _Z30fast_hadamard_transform_kernelI37fast_hadamard_transform_kernel_traitsILi256ELi13E14__hip_bfloat16EEv18HadamardParamsBase.kd
    .uniform_work_group_size: 1
    .uses_dynamic_stack: false
    .vgpr_count:     62
    .vgpr_spill_count: 0
    .wavefront_size: 32
    .workgroup_processor_mode: 1
  - .args:
      - .offset:         0
        .size:           56
        .value_kind:     by_value
      - .offset:         56
        .size:           4
        .value_kind:     hidden_block_count_x
      - .offset:         60
        .size:           4
        .value_kind:     hidden_block_count_y
      - .offset:         64
        .size:           4
        .value_kind:     hidden_block_count_z
      - .offset:         68
        .size:           2
        .value_kind:     hidden_group_size_x
      - .offset:         70
        .size:           2
        .value_kind:     hidden_group_size_y
      - .offset:         72
        .size:           2
        .value_kind:     hidden_group_size_z
      - .offset:         74
        .size:           2
        .value_kind:     hidden_remainder_x
      - .offset:         76
        .size:           2
        .value_kind:     hidden_remainder_y
      - .offset:         78
        .size:           2
        .value_kind:     hidden_remainder_z
      - .offset:         96
        .size:           8
        .value_kind:     hidden_global_offset_x
      - .offset:         104
        .size:           8
        .value_kind:     hidden_global_offset_y
      - .offset:         112
        .size:           8
        .value_kind:     hidden_global_offset_z
      - .offset:         120
        .size:           2
        .value_kind:     hidden_grid_dims
      - .offset:         176
        .size:           4
        .value_kind:     hidden_dynamic_lds_size
    .group_segment_fixed_size: 0
    .kernarg_segment_align: 8
    .kernarg_segment_size: 312
    .language:       OpenCL C
    .language_version:
      - 2
      - 0
    .max_flat_workgroup_size: 256
    .name:           _Z30fast_hadamard_transform_kernelI37fast_hadamard_transform_kernel_traitsILi256ELi14E14__hip_bfloat16EEv18HadamardParamsBase
    .private_segment_fixed_size: 0
    .sgpr_count:     26
    .sgpr_spill_count: 0
    .symbol:         _Z30fast_hadamard_transform_kernelI37fast_hadamard_transform_kernel_traitsILi256ELi14E14__hip_bfloat16EEv18HadamardParamsBase.kd
    .uniform_work_group_size: 1
    .uses_dynamic_stack: false
    .vgpr_count:     152
    .vgpr_spill_count: 0
    .wavefront_size: 32
    .workgroup_processor_mode: 1
  - .args:
      - .offset:         0
        .size:           56
        .value_kind:     by_value
      - .offset:         56
        .size:           4
        .value_kind:     hidden_block_count_x
      - .offset:         60
        .size:           4
        .value_kind:     hidden_block_count_y
      - .offset:         64
        .size:           4
        .value_kind:     hidden_block_count_z
      - .offset:         68
        .size:           2
        .value_kind:     hidden_group_size_x
      - .offset:         70
        .size:           2
        .value_kind:     hidden_group_size_y
      - .offset:         72
        .size:           2
        .value_kind:     hidden_group_size_z
      - .offset:         74
        .size:           2
        .value_kind:     hidden_remainder_x
      - .offset:         76
        .size:           2
        .value_kind:     hidden_remainder_y
      - .offset:         78
        .size:           2
        .value_kind:     hidden_remainder_z
      - .offset:         96
        .size:           8
        .value_kind:     hidden_global_offset_x
      - .offset:         104
        .size:           8
        .value_kind:     hidden_global_offset_y
      - .offset:         112
        .size:           8
        .value_kind:     hidden_global_offset_z
      - .offset:         120
        .size:           2
        .value_kind:     hidden_grid_dims
      - .offset:         176
        .size:           4
        .value_kind:     hidden_dynamic_lds_size
    .group_segment_fixed_size: 0
    .kernarg_segment_align: 8
    .kernarg_segment_size: 312
    .language:       OpenCL C
    .language_version:
      - 2
      - 0
    .max_flat_workgroup_size: 256
    .name:           _Z30fast_hadamard_transform_kernelI37fast_hadamard_transform_kernel_traitsILi256ELi15E14__hip_bfloat16EEv18HadamardParamsBase
    .private_segment_fixed_size: 168
    .sgpr_count:     32
    .sgpr_spill_count: 0
    .symbol:         _Z30fast_hadamard_transform_kernelI37fast_hadamard_transform_kernel_traitsILi256ELi15E14__hip_bfloat16EEv18HadamardParamsBase.kd
    .uniform_work_group_size: 1
    .uses_dynamic_stack: false
    .vgpr_count:     256
    .vgpr_spill_count: 65
    .wavefront_size: 32
    .workgroup_processor_mode: 1
amdhsa.target:   amdgcn-amd-amdhsa--gfx1100
amdhsa.version:
  - 1
  - 2
...

	.end_amdgpu_metadata
